;; amdgpu-corpus repo=ROCm/rocFFT kind=compiled arch=gfx1030 opt=O3
	.text
	.amdgcn_target "amdgcn-amd-amdhsa--gfx1030"
	.amdhsa_code_object_version 6
	.protected	bluestein_single_back_len1352_dim1_half_op_CI_CI ; -- Begin function bluestein_single_back_len1352_dim1_half_op_CI_CI
	.globl	bluestein_single_back_len1352_dim1_half_op_CI_CI
	.p2align	8
	.type	bluestein_single_back_len1352_dim1_half_op_CI_CI,@function
bluestein_single_back_len1352_dim1_half_op_CI_CI: ; @bluestein_single_back_len1352_dim1_half_op_CI_CI
; %bb.0:
	s_load_dwordx4 s[16:19], s[4:5], 0x28
	v_mul_u32_u24_e32 v1, 0x4ed, v0
	v_mov_b32_e32 v58, 0
	s_mov_b32 s0, exec_lo
	v_lshrrev_b32_e32 v1, 16, v1
	v_add_nc_u32_e32 v57, s6, v1
	s_waitcnt lgkmcnt(0)
	v_cmpx_gt_u64_e64 s[16:17], v[57:58]
	s_cbranch_execz .LBB0_10
; %bb.1:
	s_clause 0x1
	s_load_dwordx4 s[0:3], s[4:5], 0x18
	s_load_dwordx4 s[12:15], s[4:5], 0x0
	v_mul_lo_u16 v1, v1, 52
	s_load_dwordx2 s[4:5], s[4:5], 0x38
	v_sub_nc_u16 v59, v0, v1
	v_and_b32_e32 v107, 0xffff, v59
	v_or_b32_e32 v98, 0x340, v107
	v_lshlrev_b32_e32 v82, 2, v107
	v_lshlrev_b32_e32 v114, 3, v107
	s_waitcnt lgkmcnt(0)
	s_load_dwordx4 s[8:11], s[0:1], 0x0
	v_lshlrev_b32_e32 v111, 2, v98
	v_add_co_u32 v15, s0, s12, v82
	v_add_co_ci_u32_e64 v21, null, s13, 0, s0
	v_add_nc_u32_e32 v37, 0xa00, v82
	v_add_co_u32 v16, vcc_lo, 0x800, v15
	v_add_co_ci_u32_e32 v17, vcc_lo, 0, v21, vcc_lo
	s_clause 0x3
	global_load_dword v110, v82, s[12:13]
	global_load_dword v108, v82, s[12:13] offset:208
	global_load_dword v102, v111, s[12:13]
	global_load_dword v109, v[16:17], off offset:656
	v_add_nc_u32_e32 v54, 0xc00, v82
	v_add_nc_u32_e32 v56, 0x200, v82
	;; [unrolled: 1-line block ×7, first 2 shown]
	s_waitcnt lgkmcnt(0)
	v_mad_u64_u32 v[0:1], null, s10, v57, 0
	v_mad_u64_u32 v[2:3], null, s8, v107, 0
	;; [unrolled: 1-line block ×3, first 2 shown]
	s_mul_i32 s1, s9, 0xa90
	s_mul_hi_u32 s7, s8, 0xa90
	s_mul_i32 s0, s8, 0xa90
	s_add_i32 s1, s7, s1
	v_mad_u64_u32 v[6:7], null, s11, v57, v[1:2]
	v_mad_u64_u32 v[7:8], null, s9, v107, v[3:4]
	s_mul_hi_u32 s11, s8, 0xfffff640
	s_mul_i32 s10, s9, 0xfffff640
	s_mul_i32 s6, s8, 0xfffff640
	s_sub_i32 s11, s11, s8
	v_mov_b32_e32 v1, v6
	v_mad_u64_u32 v[5:6], null, s9, v98, v[5:6]
	v_mov_b32_e32 v3, v7
	s_add_i32 s7, s11, s10
	v_lshlrev_b64 v[0:1], 2, v[0:1]
	v_lshlrev_b64 v[2:3], 2, v[2:3]
	v_add_co_u32 v8, vcc_lo, s18, v0
	v_add_co_ci_u32_e32 v9, vcc_lo, s19, v1, vcc_lo
	v_add_co_u32 v0, vcc_lo, v8, v2
	v_add_co_ci_u32_e32 v1, vcc_lo, v9, v3, vcc_lo
	v_lshlrev_b64 v[2:3], 2, v[4:5]
	v_add_co_u32 v6, vcc_lo, v0, s0
	v_add_co_ci_u32_e32 v7, vcc_lo, s1, v1, vcc_lo
	global_load_dword v5, v[0:1], off
	v_add_co_u32 v2, vcc_lo, v8, v2
	v_add_co_ci_u32_e32 v3, vcc_lo, v9, v3, vcc_lo
	v_add_co_u32 v8, vcc_lo, v6, s6
	v_add_co_ci_u32_e32 v9, vcc_lo, s7, v7, vcc_lo
	global_load_dword v2, v[2:3], off
	v_add_co_u32 v10, vcc_lo, v8, s0
	v_add_co_ci_u32_e32 v11, vcc_lo, s1, v9, vcc_lo
	v_add_co_u32 v12, vcc_lo, v10, s6
	global_load_dword v4, v[10:11], off
	v_add_co_ci_u32_e32 v13, vcc_lo, s7, v11, vcc_lo
	s_clause 0x1
	global_load_dword v3, v[6:7], off
	global_load_dword v1, v[8:9], off
	v_add_co_u32 v6, vcc_lo, v12, s0
	v_add_co_ci_u32_e32 v7, vcc_lo, s1, v13, vcc_lo
	v_add_co_u32 v8, vcc_lo, v6, s6
	v_add_co_ci_u32_e32 v9, vcc_lo, s7, v7, vcc_lo
	s_clause 0x1
	global_load_dword v106, v[16:17], off offset:864
	global_load_dword v105, v82, s[12:13] offset:416
	global_load_dword v0, v[12:13], off
	global_load_dword v104, v[16:17], off offset:1072
	global_load_dword v7, v[6:7], off
	global_load_dword v6, v[8:9], off
	s_clause 0x2
	global_load_dword v103, v82, s[12:13] offset:624
	global_load_dword v101, v82, s[12:13] offset:832
	global_load_dword v100, v[16:17], off offset:1488
	v_mad_u64_u32 v[10:11], null, 0xd0, s8, v[8:9]
	v_mad_u64_u32 v[11:12], null, 0xd0, s9, v[11:12]
	v_add_co_u32 v8, vcc_lo, v10, s0
	v_add_co_ci_u32_e32 v9, vcc_lo, s1, v11, vcc_lo
	global_load_dword v10, v[10:11], off
	v_add_co_u32 v11, vcc_lo, v8, s6
	v_add_co_ci_u32_e32 v12, vcc_lo, s7, v9, vcc_lo
	global_load_dword v9, v[8:9], off
	;; [unrolled: 3-line block ×3, first 2 shown]
	v_add_co_u32 v11, vcc_lo, v13, s6
	v_add_co_ci_u32_e32 v12, vcc_lo, s7, v14, vcc_lo
	s_clause 0x3
	global_load_dword v99, v82, s[12:13] offset:1040
	global_load_dword v96, v82, s[12:13] offset:1248
	;; [unrolled: 1-line block ×3, first 2 shown]
	global_load_dword v97, v[16:17], off offset:1696
	global_load_dword v14, v[13:14], off
	global_load_dword v13, v[11:12], off
	v_add_co_u32 v18, vcc_lo, v11, s0
	v_add_co_ci_u32_e32 v19, vcc_lo, s1, v12, vcc_lo
	v_add_co_u32 v20, vcc_lo, 0x1000, v15
	v_add_co_ci_u32_e32 v21, vcc_lo, 0, v21, vcc_lo
	global_load_dword v11, v[18:19], off
	v_add_co_u32 v18, vcc_lo, v18, s6
	v_add_co_ci_u32_e32 v19, vcc_lo, s7, v19, vcc_lo
	global_load_dword v95, v[16:17], off offset:1904
	v_add_co_u32 v22, vcc_lo, v18, s0
	v_add_co_ci_u32_e32 v23, vcc_lo, s1, v19, vcc_lo
	global_load_dword v12, v[18:19], off
	v_add_co_u32 v18, vcc_lo, v22, s6
	v_add_co_ci_u32_e32 v19, vcc_lo, s7, v23, vcc_lo
	global_load_dword v15, v[22:23], off
	s_clause 0x1
	global_load_dword v93, v[20:21], off offset:64
	global_load_dword v92, v82, s[12:13] offset:1664
	global_load_dword v24, v[18:19], off
	v_add_co_u32 v18, vcc_lo, v18, s0
	v_add_co_ci_u32_e32 v19, vcc_lo, s1, v19, vcc_lo
	global_load_dword v91, v[20:21], off offset:272
	v_add_co_u32 v22, vcc_lo, v18, s6
	v_add_co_ci_u32_e32 v23, vcc_lo, s7, v19, vcc_lo
	global_load_dword v25, v[18:19], off
	v_add_co_u32 v18, vcc_lo, v22, s0
	v_add_co_ci_u32_e32 v19, vcc_lo, s1, v23, vcc_lo
	global_load_dword v90, v82, s[12:13] offset:1872
	global_load_dword v26, v[22:23], off
	s_clause 0x1
	global_load_dword v89, v[20:21], off offset:480
	global_load_dword v87, v[20:21], off offset:688
	global_load_dword v27, v[18:19], off
	v_add_co_u32 v18, vcc_lo, v18, s6
	v_add_co_ci_u32_e32 v19, vcc_lo, s7, v19, vcc_lo
	s_clause 0x1
	global_load_dword v88, v[16:17], off offset:32
	global_load_dword v86, v[16:17], off offset:240
	v_add_co_u32 v22, vcc_lo, v18, s0
	v_add_co_ci_u32_e32 v23, vcc_lo, s1, v19, vcc_lo
	global_load_dword v28, v[18:19], off
	v_add_co_u32 v18, vcc_lo, v22, s6
	v_add_co_ci_u32_e32 v19, vcc_lo, s7, v23, vcc_lo
	global_load_dword v29, v[22:23], off
	;; [unrolled: 3-line block ×4, first 2 shown]
	v_add_co_u32 v22, vcc_lo, v18, s0
	v_add_co_ci_u32_e32 v23, vcc_lo, s1, v19, vcc_lo
	global_load_dword v85, v[20:21], off offset:896
	global_load_dword v32, v[18:19], off
	global_load_dword v22, v[22:23], off
	s_clause 0x1
	global_load_dword v84, v[16:17], off offset:448
	global_load_dword v83, v[20:21], off offset:1104
	v_mov_b32_e32 v16, 2
	v_lshlrev_b16 v17, 1, v59
	v_and_b32_e32 v19, 1, v107
	s_load_dwordx4 s[8:11], s[2:3], 0x0
	v_add_co_u32 v18, null, v107, 52
	v_lshlrev_b32_sdwa v112, v16, v17 dst_sel:DWORD dst_unused:UNUSED_PAD src0_sel:DWORD src1_sel:WORD_0
	v_cmp_gt_u16_e32 vcc_lo, 26, v59
	v_lshlrev_b32_e32 v113, 3, v18
	s_waitcnt vmcnt(47)
	v_lshrrev_b32_e32 v16, 16, v5
	v_mul_f16_sdwa v17, v110, v5 dst_sel:DWORD dst_unused:UNUSED_PAD src0_sel:WORD_1 src1_sel:DWORD
	v_mul_f16_sdwa v23, v110, v16 dst_sel:DWORD dst_unused:UNUSED_PAD src0_sel:WORD_1 src1_sel:DWORD
	v_fma_f16 v16, v110, v16, -v17
	s_waitcnt vmcnt(46)
	v_lshrrev_b32_e32 v20, 16, v2
	v_mul_f16_sdwa v21, v102, v2 dst_sel:DWORD dst_unused:UNUSED_PAD src0_sel:WORD_1 src1_sel:DWORD
	v_fmac_f16_e32 v23, v110, v5
	v_mul_f16_sdwa v36, v102, v20 dst_sel:DWORD dst_unused:UNUSED_PAD src0_sel:WORD_1 src1_sel:DWORD
	v_fma_f16 v20, v102, v20, -v21
	v_fmac_f16_e32 v36, v102, v2
	s_waitcnt vmcnt(44)
	v_lshrrev_b32_e32 v17, 16, v3
	v_mul_f16_sdwa v35, v109, v3 dst_sel:DWORD dst_unused:UNUSED_PAD src0_sel:WORD_1 src1_sel:DWORD
	s_waitcnt vmcnt(43)
	v_lshrrev_b32_e32 v21, 16, v1
	v_pack_b32_f16 v2, v23, v16
	v_pack_b32_f16 v20, v36, v20
	v_mul_f16_sdwa v5, v109, v17 dst_sel:DWORD dst_unused:UNUSED_PAD src0_sel:WORD_1 src1_sel:DWORD
	v_fma_f16 v17, v109, v17, -v35
	v_mul_f16_sdwa v35, v108, v1 dst_sel:DWORD dst_unused:UNUSED_PAD src0_sel:WORD_1 src1_sel:DWORD
	s_waitcnt vmcnt(42)
	v_mul_f16_sdwa v23, v106, v4 dst_sel:DWORD dst_unused:UNUSED_PAD src0_sel:WORD_1 src1_sel:DWORD
	v_fmac_f16_e32 v5, v109, v3
	v_mul_f16_sdwa v3, v108, v21 dst_sel:DWORD dst_unused:UNUSED_PAD src0_sel:WORD_1 src1_sel:DWORD
	v_fma_f16 v16, v108, v21, -v35
	v_lshrrev_b32_e32 v21, 16, v4
	s_waitcnt vmcnt(37)
	v_lshrrev_b32_e32 v35, 16, v6
	v_pack_b32_f16 v5, v5, v17
	v_fmac_f16_e32 v3, v108, v1
	v_mul_f16_sdwa v1, v106, v21 dst_sel:DWORD dst_unused:UNUSED_PAD src0_sel:WORD_1 src1_sel:DWORD
	v_fma_f16 v17, v106, v21, -v23
	ds_write_b32 v82, v5 offset:2704
	v_lshrrev_b32_e32 v5, 16, v7
	v_lshrrev_b32_e32 v21, 16, v0
	v_mul_f16_sdwa v23, v105, v0 dst_sel:DWORD dst_unused:UNUSED_PAD src0_sel:WORD_1 src1_sel:DWORD
	v_fmac_f16_e32 v1, v106, v4
	v_mul_f16_sdwa v4, v104, v7 dst_sel:DWORD dst_unused:UNUSED_PAD src0_sel:WORD_1 src1_sel:DWORD
	v_mul_f16_sdwa v36, v104, v5 dst_sel:DWORD dst_unused:UNUSED_PAD src0_sel:WORD_1 src1_sel:DWORD
	v_pack_b32_f16 v3, v3, v16
	v_mul_f16_sdwa v16, v105, v21 dst_sel:DWORD dst_unused:UNUSED_PAD src0_sel:WORD_1 src1_sel:DWORD
	v_fma_f16 v21, v105, v21, -v23
	v_fma_f16 v4, v104, v5, -v4
	s_waitcnt vmcnt(36)
	v_mul_f16_sdwa v5, v103, v6 dst_sel:DWORD dst_unused:UNUSED_PAD src0_sel:WORD_1 src1_sel:DWORD
	v_mul_f16_sdwa v23, v103, v35 dst_sel:DWORD dst_unused:UNUSED_PAD src0_sel:WORD_1 src1_sel:DWORD
	v_fmac_f16_e32 v36, v104, v7
	v_pack_b32_f16 v1, v1, v17
	v_fmac_f16_e32 v16, v105, v0
	v_fma_f16 v0, v103, v35, -v5
	v_fmac_f16_e32 v23, v103, v6
	v_pack_b32_f16 v4, v36, v4
	ds_write2_b32 v82, v2, v3 offset1:52
	s_waitcnt vmcnt(33)
	v_lshrrev_b32_e32 v2, 16, v10
	v_pack_b32_f16 v3, v16, v21
	v_pack_b32_f16 v0, v23, v0
	ds_write2_b32 v37, v1, v4 offset0:88 offset1:140
	v_mul_f16_sdwa v1, v101, v10 dst_sel:DWORD dst_unused:UNUSED_PAD src0_sel:WORD_1 src1_sel:DWORD
	v_mul_f16_sdwa v4, v101, v2 dst_sel:DWORD dst_unused:UNUSED_PAD src0_sel:WORD_1 src1_sel:DWORD
	s_waitcnt vmcnt(32)
	v_lshrrev_b32_e32 v5, 16, v9
	ds_write2_b32 v82, v3, v0 offset0:104 offset1:156
	v_mul_f16_sdwa v0, v100, v9 dst_sel:DWORD dst_unused:UNUSED_PAD src0_sel:WORD_1 src1_sel:DWORD
	v_fma_f16 v1, v101, v2, -v1
	v_fmac_f16_e32 v4, v101, v10
	v_mul_f16_sdwa v2, v100, v5 dst_sel:DWORD dst_unused:UNUSED_PAD src0_sel:WORD_1 src1_sel:DWORD
	s_waitcnt vmcnt(31)
	v_lshrrev_b32_e32 v3, 16, v8
	v_fma_f16 v0, v100, v5, -v0
	s_waitcnt vmcnt(30)
	v_mul_f16_sdwa v5, v99, v8 dst_sel:DWORD dst_unused:UNUSED_PAD src0_sel:WORD_1 src1_sel:DWORD
	v_pack_b32_f16 v1, v4, v1
	v_fmac_f16_e32 v2, v100, v9
	v_mul_f16_sdwa v4, v99, v3 dst_sel:DWORD dst_unused:UNUSED_PAD src0_sel:WORD_1 src1_sel:DWORD
	s_waitcnt vmcnt(26)
	v_lshrrev_b32_e32 v6, 16, v14
	v_mul_f16_sdwa v7, v97, v14 dst_sel:DWORD dst_unused:UNUSED_PAD src0_sel:WORD_1 src1_sel:DWORD
	v_fma_f16 v3, v99, v3, -v5
	v_pack_b32_f16 v0, v2, v0
	v_fmac_f16_e32 v4, v99, v8
	v_mul_f16_sdwa v2, v97, v6 dst_sel:DWORD dst_unused:UNUSED_PAD src0_sel:WORD_1 src1_sel:DWORD
	v_fma_f16 v5, v97, v6, -v7
	s_waitcnt vmcnt(25)
	v_lshrrev_b32_e32 v6, 16, v13
	v_mul_f16_sdwa v7, v96, v13 dst_sel:DWORD dst_unused:UNUSED_PAD src0_sel:WORD_1 src1_sel:DWORD
	ds_write2_b32 v54, v20, v0 offset0:64 offset1:116
	v_pack_b32_f16 v0, v4, v3
	v_fmac_f16_e32 v2, v97, v14
	v_mul_f16_sdwa v3, v96, v6 dst_sel:DWORD dst_unused:UNUSED_PAD src0_sel:WORD_1 src1_sel:DWORD
	v_fma_f16 v4, v96, v6, -v7
	s_waitcnt vmcnt(24)
	v_lshrrev_b32_e32 v6, 16, v11
	s_waitcnt vmcnt(23)
	v_mul_f16_sdwa v7, v95, v11 dst_sel:DWORD dst_unused:UNUSED_PAD src0_sel:WORD_1 src1_sel:DWORD
	ds_write2_b32 v56, v1, v0 offset0:80 offset1:132
	v_pack_b32_f16 v0, v2, v5
	v_fmac_f16_e32 v3, v96, v13
	v_mul_f16_sdwa v1, v95, v6 dst_sel:DWORD dst_unused:UNUSED_PAD src0_sel:WORD_1 src1_sel:DWORD
	s_waitcnt vmcnt(22)
	v_lshrrev_b32_e32 v2, 16, v12
	v_fma_f16 v5, v95, v6, -v7
	v_mul_f16_sdwa v6, v94, v12 dst_sel:DWORD dst_unused:UNUSED_PAD src0_sel:WORD_1 src1_sel:DWORD
	v_pack_b32_f16 v3, v3, v4
	v_fmac_f16_e32 v1, v95, v11
	v_mul_f16_sdwa v4, v94, v2 dst_sel:DWORD dst_unused:UNUSED_PAD src0_sel:WORD_1 src1_sel:DWORD
	s_waitcnt vmcnt(21)
	v_lshrrev_b32_e32 v7, 16, v15
	s_waitcnt vmcnt(20)
	v_mul_f16_sdwa v8, v93, v15 dst_sel:DWORD dst_unused:UNUSED_PAD src0_sel:WORD_1 src1_sel:DWORD
	v_fma_f16 v2, v94, v2, -v6
	v_pack_b32_f16 v1, v1, v5
	v_fmac_f16_e32 v4, v94, v12
	v_mul_f16_sdwa v5, v93, v7 dst_sel:DWORD dst_unused:UNUSED_PAD src0_sel:WORD_1 src1_sel:DWORD
	v_fma_f16 v6, v93, v7, -v8
	s_waitcnt vmcnt(18)
	v_lshrrev_b32_e32 v7, 16, v24
	v_mul_f16_sdwa v8, v92, v24 dst_sel:DWORD dst_unused:UNUSED_PAD src0_sel:WORD_1 src1_sel:DWORD
	ds_write2_b32 v54, v0, v1 offset0:168 offset1:220
	v_pack_b32_f16 v0, v4, v2
	v_fmac_f16_e32 v5, v93, v15
	v_mul_f16_sdwa v1, v92, v7 dst_sel:DWORD dst_unused:UNUSED_PAD src0_sel:WORD_1 src1_sel:DWORD
	s_waitcnt vmcnt(16)
	v_lshrrev_b32_e32 v4, 16, v25
	v_fma_f16 v2, v92, v7, -v8
	v_mul_f16_sdwa v7, v91, v25 dst_sel:DWORD dst_unused:UNUSED_PAD src0_sel:WORD_1 src1_sel:DWORD
	ds_write2_b32 v58, v3, v0 offset0:56 offset1:108
	v_pack_b32_f16 v0, v5, v6
	v_fmac_f16_e32 v1, v92, v24
	v_mul_f16_sdwa v3, v91, v4 dst_sel:DWORD dst_unused:UNUSED_PAD src0_sel:WORD_1 src1_sel:DWORD
	s_waitcnt vmcnt(14)
	v_lshrrev_b32_e32 v5, 16, v26
	v_fma_f16 v4, v91, v4, -v7
	v_mul_f16_sdwa v6, v90, v26 dst_sel:DWORD dst_unused:UNUSED_PAD src0_sel:WORD_1 src1_sel:DWORD
	v_pack_b32_f16 v1, v1, v2
	v_fmac_f16_e32 v3, v91, v25
	v_mul_f16_sdwa v2, v90, v5 dst_sel:DWORD dst_unused:UNUSED_PAD src0_sel:WORD_1 src1_sel:DWORD
	s_waitcnt vmcnt(11)
	v_lshrrev_b32_e32 v7, 16, v27
	v_mul_f16_sdwa v8, v89, v27 dst_sel:DWORD dst_unused:UNUSED_PAD src0_sel:WORD_1 src1_sel:DWORD
	v_fma_f16 v5, v90, v5, -v6
	v_pack_b32_f16 v3, v3, v4
	v_fmac_f16_e32 v2, v90, v26
	v_mul_f16_sdwa v4, v89, v7 dst_sel:DWORD dst_unused:UNUSED_PAD src0_sel:WORD_1 src1_sel:DWORD
	v_fma_f16 v6, v89, v7, -v8
	s_waitcnt vmcnt(8)
	v_lshrrev_b32_e32 v7, 16, v28
	v_mul_f16_sdwa v8, v88, v28 dst_sel:DWORD dst_unused:UNUSED_PAD src0_sel:WORD_1 src1_sel:DWORD
	ds_write2_b32 v55, v0, v3 offset0:16 offset1:68
	v_pack_b32_f16 v0, v2, v5
	v_fmac_f16_e32 v4, v89, v27
	v_mul_f16_sdwa v2, v88, v7 dst_sel:DWORD dst_unused:UNUSED_PAD src0_sel:WORD_1 src1_sel:DWORD
	v_fma_f16 v3, v88, v7, -v8
	s_waitcnt vmcnt(7)
	v_lshrrev_b32_e32 v5, 16, v29
	v_mul_f16_sdwa v7, v87, v29 dst_sel:DWORD dst_unused:UNUSED_PAD src0_sel:WORD_1 src1_sel:DWORD
	v_pack_b32_f16 v4, v4, v6
	v_fmac_f16_e32 v2, v88, v28
	s_waitcnt vmcnt(6)
	v_lshrrev_b32_e32 v6, 16, v30
	v_mul_f16_sdwa v8, v87, v5 dst_sel:DWORD dst_unused:UNUSED_PAD src0_sel:WORD_1 src1_sel:DWORD
	v_fma_f16 v5, v87, v5, -v7
	v_mul_f16_sdwa v7, v86, v30 dst_sel:DWORD dst_unused:UNUSED_PAD src0_sel:WORD_1 src1_sel:DWORD
	v_pack_b32_f16 v2, v2, v3
	v_mul_f16_sdwa v3, v86, v6 dst_sel:DWORD dst_unused:UNUSED_PAD src0_sel:WORD_1 src1_sel:DWORD
	s_waitcnt vmcnt(5)
	v_lshrrev_b32_e32 v9, 16, v31
	s_waitcnt vmcnt(3)
	v_lshrrev_b32_e32 v10, 16, v32
	v_fma_f16 v6, v86, v6, -v7
	v_mul_f16_sdwa v7, v85, v31 dst_sel:DWORD dst_unused:UNUSED_PAD src0_sel:WORD_1 src1_sel:DWORD
	s_waitcnt vmcnt(2)
	v_lshrrev_b32_e32 v12, 16, v22
	v_mul_f16_sdwa v11, v85, v9 dst_sel:DWORD dst_unused:UNUSED_PAD src0_sel:WORD_1 src1_sel:DWORD
	s_waitcnt vmcnt(1)
	v_mul_f16_sdwa v13, v84, v10 dst_sel:DWORD dst_unused:UNUSED_PAD src0_sel:WORD_1 src1_sel:DWORD
	s_waitcnt vmcnt(0)
	v_mul_f16_sdwa v14, v83, v22 dst_sel:DWORD dst_unused:UNUSED_PAD src0_sel:WORD_1 src1_sel:DWORD
	v_fma_f16 v7, v85, v9, -v7
	v_mul_f16_sdwa v9, v84, v32 dst_sel:DWORD dst_unused:UNUSED_PAD src0_sel:WORD_1 src1_sel:DWORD
	v_mul_f16_sdwa v15, v83, v12 dst_sel:DWORD dst_unused:UNUSED_PAD src0_sel:WORD_1 src1_sel:DWORD
	v_fmac_f16_e32 v8, v87, v29
	v_fmac_f16_e32 v3, v86, v30
	;; [unrolled: 1-line block ×3, first 2 shown]
	v_fma_f16 v9, v84, v10, -v9
	v_fmac_f16_e32 v13, v84, v32
	v_fma_f16 v10, v83, v12, -v14
	v_fmac_f16_e32 v15, v83, v22
	v_pack_b32_f16 v5, v8, v5
	v_pack_b32_f16 v3, v3, v6
	;; [unrolled: 1-line block ×5, first 2 shown]
	ds_write2_b32 v58, v1, v0 offset0:160 offset1:212
	ds_write2_b32 v55, v4, v5 offset0:120 offset1:172
	ds_write2_b32 v64, v2, v3 offset0:8 offset1:60
	ds_write_b32 v82, v7 offset:2496
	ds_write2_b32 v34, v6, v8 offset0:96 offset1:148
	s_waitcnt lgkmcnt(0)
	s_barrier
	buffer_gl0_inv
	ds_read2_b32 v[0:1], v82 offset1:52
	v_mul_u32_u24_e32 v8, 12, v19
	ds_read2_b32 v[2:3], v82 offset0:104 offset1:156
	ds_read2_b32 v[4:5], v56 offset0:80 offset1:132
	;; [unrolled: 1-line block ×3, first 2 shown]
	v_add_nc_u32_e32 v28, 0x800, v114
	v_lshlrev_b32_e32 v30, 2, v8
	ds_read2_b32 v[8:9], v58 offset0:160 offset1:212
	ds_read2_b32 v[10:11], v64 offset0:112 offset1:164
	;; [unrolled: 1-line block ×9, first 2 shown]
	v_add_nc_u32_e32 v29, 0x1000, v114
	s_waitcnt lgkmcnt(0)
	s_barrier
	buffer_gl0_inv
	v_lshrrev_b32_e32 v42, 16, v8
	v_lshrrev_b32_e32 v31, 16, v0
	v_lshrrev_b32_e32 v32, 16, v1
	v_lshrrev_b32_e32 v35, 16, v2
	v_lshrrev_b32_e32 v36, 16, v3
	v_sub_f16_e32 v49, v2, v15
	v_lshrrev_b32_e32 v38, 16, v4
	v_lshrrev_b32_e32 v39, 16, v5
	v_sub_f16_e32 v51, v4, v17
	v_lshrrev_b32_e32 v40, 16, v6
	v_lshrrev_b32_e32 v41, 16, v7
	;; [unrolled: 3-line block ×3, first 2 shown]
	v_lshrrev_b32_e32 v45, 16, v13
	v_lshrrev_b32_e32 v46, 16, v10
	v_sub_f16_e32 v47, v0, v11
	v_sub_f16_e32 v61, v8, v23
	;; [unrolled: 1-line block ×4, first 2 shown]
	v_sub_f16_sdwa v11, v31, v11 dst_sel:DWORD dst_unused:UNUSED_PAD src0_sel:DWORD src1_sel:WORD_1
	v_sub_f16_e32 v48, v1, v14
	v_sub_f16_sdwa v14, v32, v14 dst_sel:DWORD dst_unused:UNUSED_PAD src0_sel:DWORD src1_sel:WORD_1
	v_sub_f16_e32 v50, v3, v16
	v_sub_f16_sdwa v15, v35, v15 dst_sel:DWORD dst_unused:UNUSED_PAD src0_sel:DWORD src1_sel:WORD_1
	v_fma_f16 v68, v2, 2.0, -v49
	v_sub_f16_sdwa v2, v36, v16 dst_sel:DWORD dst_unused:UNUSED_PAD src0_sel:DWORD src1_sel:WORD_1
	v_sub_f16_e32 v52, v5, v20
	v_sub_f16_sdwa v17, v38, v17 dst_sel:DWORD dst_unused:UNUSED_PAD src0_sel:DWORD src1_sel:WORD_1
	v_fma_f16 v69, v4, 2.0, -v51
	;; [unrolled: 4-line block ×3, first 2 shown]
	v_sub_f16_sdwa v6, v41, v22 dst_sel:DWORD dst_unused:UNUSED_PAD src0_sel:DWORD src1_sel:WORD_1
	v_sub_f16_e32 v62, v9, v24
	v_sub_f16_e32 v65, v13, v26
	v_fma_f16 v0, v0, 2.0, -v47
	v_sub_f16_sdwa v23, v42, v23 dst_sel:DWORD dst_unused:UNUSED_PAD src0_sel:DWORD src1_sel:WORD_1
	v_fma_f16 v71, v8, 2.0, -v61
	v_sub_f16_sdwa v8, v43, v24 dst_sel:DWORD dst_unused:UNUSED_PAD src0_sel:DWORD src1_sel:WORD_1
	v_sub_f16_sdwa v25, v44, v25 dst_sel:DWORD dst_unused:UNUSED_PAD src0_sel:DWORD src1_sel:WORD_1
	v_fma_f16 v72, v12, 2.0, -v63
	v_sub_f16_sdwa v12, v45, v26 dst_sel:DWORD dst_unused:UNUSED_PAD src0_sel:DWORD src1_sel:WORD_1
	v_sub_f16_sdwa v27, v46, v27 dst_sel:DWORD dst_unused:UNUSED_PAD src0_sel:DWORD src1_sel:WORD_1
	v_fma_f16 v73, v10, 2.0, -v66
	v_fma_f16 v10, v31, 2.0, -v11
	;; [unrolled: 1-line block ×20, first 2 shown]
	v_pack_b32_f16 v1, v47, v11
	v_pack_b32_f16 v0, v0, v10
	;; [unrolled: 1-line block ×26, first 2 shown]
	ds_write_b64 v112, v[0:1]
	ds_write_b64 v113, v[2:3]
	ds_write2_b64 v114, v[4:5], v[6:7] offset0:104 offset1:156
	ds_write2_b64 v33, v[8:9], v[10:11] offset0:80 offset1:132
	;; [unrolled: 1-line block ×5, first 2 shown]
	ds_write_b64 v114, v[26:27] offset:4992
	s_waitcnt lgkmcnt(0)
	s_barrier
	buffer_gl0_inv
	s_clause 0x2
	global_load_dwordx4 v[0:3], v30, s[14:15]
	global_load_dwordx4 v[4:7], v30, s[14:15] offset:32
	global_load_dwordx4 v[8:11], v30, s[14:15] offset:16
	ds_read2_b32 v[14:15], v82 offset0:104 offset1:156
	ds_read2_b32 v[12:13], v34 offset0:96 offset1:148
	;; [unrolled: 1-line block ×8, first 2 shown]
	ds_read2_b32 v[16:17], v82 offset1:52
	ds_read2_b32 v[71:72], v54 offset0:64 offset1:116
	ds_read2_b32 v[73:74], v54 offset0:168 offset1:220
	;; [unrolled: 1-line block ×4, first 2 shown]
	s_waitcnt vmcnt(0) lgkmcnt(0)
	s_barrier
	buffer_gl0_inv
	v_lshrrev_b32_e32 v36, 16, v14
	v_lshrrev_b32_e32 v38, 16, v12
	;; [unrolled: 1-line block ×24, first 2 shown]
	v_mul_f16_sdwa v50, v36, v0 dst_sel:DWORD dst_unused:UNUSED_PAD src0_sel:DWORD src1_sel:WORD_1
	v_mul_f16_sdwa v132, v14, v0 dst_sel:DWORD dst_unused:UNUSED_PAD src0_sel:DWORD src1_sel:WORD_1
	v_mul_f16_sdwa v53, v38, v7 dst_sel:DWORD dst_unused:UNUSED_PAD src0_sel:DWORD src1_sel:WORD_1
	v_mul_f16_sdwa v47, v12, v7 dst_sel:DWORD dst_unused:UNUSED_PAD src0_sel:DWORD src1_sel:WORD_1
	v_mul_f16_sdwa v63, v41, v0 dst_sel:DWORD dst_unused:UNUSED_PAD src0_sel:DWORD src1_sel:WORD_1
	v_mul_f16_sdwa v133, v15, v0 dst_sel:DWORD dst_unused:UNUSED_PAD src0_sel:DWORD src1_sel:WORD_1
	v_mul_f16_sdwa v66, v49, v7 dst_sel:DWORD dst_unused:UNUSED_PAD src0_sel:DWORD src1_sel:WORD_1
	v_mul_f16_sdwa v32, v13, v7 dst_sel:DWORD dst_unused:UNUSED_PAD src0_sel:DWORD src1_sel:WORD_1
	v_mul_f16_sdwa v68, v79, v1 dst_sel:DWORD dst_unused:UNUSED_PAD src0_sel:DWORD src1_sel:WORD_1
	v_mul_f16_sdwa v135, v26, v1 dst_sel:DWORD dst_unused:UNUSED_PAD src0_sel:DWORD src1_sel:WORD_1
	v_mul_f16_sdwa v136, v81, v2 dst_sel:DWORD dst_unused:UNUSED_PAD src0_sel:DWORD src1_sel:WORD_1
	v_mul_f16_sdwa v137, v115, v2 dst_sel:DWORD dst_unused:UNUSED_PAD src0_sel:DWORD src1_sel:WORD_1
	v_mul_f16_sdwa v138, v116, v3 dst_sel:DWORD dst_unused:UNUSED_PAD src0_sel:DWORD src1_sel:WORD_1
	v_mul_f16_sdwa v140, v118, v8 dst_sel:DWORD dst_unused:UNUSED_PAD src0_sel:DWORD src1_sel:WORD_1
	v_mul_f16_sdwa v142, v120, v9 dst_sel:DWORD dst_unused:UNUSED_PAD src0_sel:DWORD src1_sel:WORD_1
	v_mul_f16_sdwa v143, v121, v9 dst_sel:DWORD dst_unused:UNUSED_PAD src0_sel:DWORD src1_sel:WORD_1
	v_mul_f16_sdwa v146, v124, v11 dst_sel:DWORD dst_unused:UNUSED_PAD src0_sel:DWORD src1_sel:WORD_1
	v_mul_f16_sdwa v147, v125, v11 dst_sel:DWORD dst_unused:UNUSED_PAD src0_sel:DWORD src1_sel:WORD_1
	v_mul_f16_sdwa v150, v128, v5 dst_sel:DWORD dst_unused:UNUSED_PAD src0_sel:DWORD src1_sel:WORD_1
	v_mul_f16_sdwa v151, v129, v5 dst_sel:DWORD dst_unused:UNUSED_PAD src0_sel:DWORD src1_sel:WORD_1
	v_mul_f16_sdwa v152, v130, v6 dst_sel:DWORD dst_unused:UNUSED_PAD src0_sel:DWORD src1_sel:WORD_1
	v_mul_f16_sdwa v153, v131, v6 dst_sel:DWORD dst_unused:UNUSED_PAD src0_sel:DWORD src1_sel:WORD_1
	v_fma_f16 v154, v14, v0, -v50
	v_fmac_f16_e32 v132, v36, v0
	v_fma_f16 v53, v12, v7, -v53
	v_fmac_f16_e32 v47, v38, v7
	;; [unrolled: 2-line block ×4, first 2 shown]
	v_mul_f16_sdwa v134, v80, v1 dst_sel:DWORD dst_unused:UNUSED_PAD src0_sel:DWORD src1_sel:WORD_1
	v_mul_f16_sdwa v67, v30, v2 dst_sel:DWORD dst_unused:UNUSED_PAD src0_sel:DWORD src1_sel:WORD_1
	;; [unrolled: 1-line block ×21, first 2 shown]
	v_fma_f16 v156, v26, v1, -v68
	v_fma_f16 v68, v30, v2, -v136
	;; [unrolled: 1-line block ×13, first 2 shown]
	v_fmac_f16_e32 v135, v79, v1
	v_sub_f16_e32 v71, v154, v53
	v_sub_f16_e32 v72, v132, v47
	;; [unrolled: 1-line block ×4, first 2 shown]
	v_add_f16_e32 v77, v16, v154
	v_add_f16_sdwa v78, v16, v132 dst_sel:DWORD dst_unused:UNUSED_PAD src0_sel:WORD_1 src1_sel:DWORD
	v_mul_f16_sdwa v33, v27, v1 dst_sel:DWORD dst_unused:UNUSED_PAD src0_sel:DWORD src1_sel:WORD_1
	v_mul_f16_sdwa v24, v40, v3 dst_sel:DWORD dst_unused:UNUSED_PAD src0_sel:DWORD src1_sel:WORD_1
	;; [unrolled: 1-line block ×5, first 2 shown]
	v_fma_f16 v38, v27, v1, -v134
	v_fma_f16 v26, v40, v3, -v139
	;; [unrolled: 1-line block ×7, first 2 shown]
	v_fmac_f16_e32 v67, v81, v2
	v_fmac_f16_e32 v48, v124, v11
	;; [unrolled: 1-line block ×9, first 2 shown]
	v_add_f16_e32 v69, v154, v53
	v_add_f16_e32 v70, v132, v47
	;; [unrolled: 1-line block ×4, first 2 shown]
	v_add_f16_sdwa v40, v17, v133 dst_sel:DWORD dst_unused:UNUSED_PAD src0_sel:WORD_1 src1_sel:DWORD
	v_mul_f16_e32 v124, 0xb770, v72
	v_mul_f16_e32 v125, 0xb770, v71
	;; [unrolled: 1-line block ×24, first 2 shown]
	v_add_f16_e32 v77, v77, v156
	v_add_f16_e32 v78, v78, v135
	v_fmac_f16_e32 v65, v116, v3
	v_fmac_f16_e32 v46, v118, v8
	;; [unrolled: 1-line block ×4, first 2 shown]
	v_sub_f16_e32 v79, v135, v52
	v_sub_f16_e32 v81, v156, v61
	;; [unrolled: 1-line block ×3, first 2 shown]
	v_add_f16_e32 v117, v68, v62
	v_sub_f16_e32 v118, v68, v62
	v_add_f16_e32 v119, v67, v51
	v_fma_f16 v174, v69, 0x3b15, -v124
	v_fmamk_f16 v175, v70, 0x3b15, v125
	v_fmac_f16_e32 v124, 0x3b15, v69
	v_fma_f16 v125, v70, 0x3b15, -v125
	v_fma_f16 v176, v69, 0x388b, -v126
	v_fmamk_f16 v177, v70, 0x388b, v127
	v_fmac_f16_e32 v126, 0x388b, v69
	v_fma_f16 v127, v70, 0x388b, -v127
	;; [unrolled: 4-line block ×6, first 2 shown]
	v_fma_f16 v70, v73, 0x3b15, -v134
	v_fmac_f16_e32 v134, 0x3b15, v73
	v_fma_f16 v71, v73, 0x388b, -v137
	v_fmac_f16_e32 v137, 0x388b, v73
	;; [unrolled: 2-line block ×6, first 2 shown]
	v_fmamk_f16 v73, v74, 0x3b15, v136
	v_fma_f16 v136, v74, 0x3b15, -v136
	v_fmamk_f16 v190, v74, 0x388b, v138
	v_fma_f16 v138, v74, 0x388b, -v138
	;; [unrolled: 2-line block ×6, first 2 shown]
	v_add_f16_e32 v68, v77, v68
	v_add_f16_e32 v67, v78, v67
	v_fmac_f16_e32 v42, v120, v9
	v_fmac_f16_e32 v33, v80, v1
	;; [unrolled: 1-line block ×4, first 2 shown]
	v_add_f16_e32 v41, v17, v155
	v_add_f16_e32 v80, v156, v61
	;; [unrolled: 1-line block ×3, first 2 shown]
	v_sub_f16_e32 v120, v65, v60
	v_add_f16_e32 v123, v65, v60
	v_mul_f16_e32 v145, 0xba95, v79
	v_mul_f16_e32 v146, 0xbb7b, v79
	;; [unrolled: 1-line block ×12, first 2 shown]
	v_add_f16_e32 v70, v17, v70
	v_add_f16_sdwa v73, v17, v73 dst_sel:DWORD dst_unused:UNUSED_PAD src0_sel:WORD_1 src1_sel:DWORD
	v_add_f16_e32 v134, v17, v134
	v_add_f16_sdwa v136, v17, v136 dst_sel:DWORD dst_unused:UNUSED_PAD src0_sel:WORD_1 src1_sel:DWORD
	;; [unrolled: 2-line block ×12, first 2 shown]
	v_add_f16_e32 v17, v68, v66
	v_add_f16_e32 v65, v67, v65
	v_mul_f16_e32 v154, 0xbbf1, v116
	v_mul_f16_e32 v155, 0xb3a8, v116
	;; [unrolled: 1-line block ×12, first 2 shown]
	v_fma_f16 v199, v80, 0x3b15, -v79
	v_fmac_f16_e32 v79, 0x3b15, v80
	v_fmamk_f16 v204, v115, 0x3b15, v81
	v_fma_f16 v81, v115, 0x3b15, -v81
	v_add_f16_e32 v174, v16, v174
	v_add_f16_sdwa v175, v16, v175 dst_sel:DWORD dst_unused:UNUSED_PAD src0_sel:WORD_1 src1_sel:DWORD
	v_add_f16_e32 v124, v16, v124
	v_add_f16_sdwa v125, v16, v125 dst_sel:DWORD dst_unused:UNUSED_PAD src0_sel:WORD_1 src1_sel:DWORD
	;; [unrolled: 2-line block ×12, first 2 shown]
	v_add_f16_e32 v17, v17, v49
	v_add_f16_e32 v65, v65, v46
	v_fmac_f16_e32 v43, v122, v10
	v_fma_f16 v209, v117, 0xb9fd, -v116
	v_fmac_f16_e32 v116, 0xb9fd, v117
	v_fmamk_f16 v212, v119, 0xb9fd, v118
	v_fma_f16 v118, v119, 0xb9fd, -v118
	v_add_f16_e32 v72, v79, v72
	v_add_f16_e32 v16, v81, v16
	;; [unrolled: 1-line block ×4, first 2 shown]
	v_sub_f16_e32 v122, v66, v63
	v_add_f16_e32 v72, v116, v72
	v_add_f16_e32 v116, v118, v16
	;; [unrolled: 1-line block ×4, first 2 shown]
	v_fma_f16 v75, v80, 0x388b, -v145
	v_fmac_f16_e32 v145, 0x388b, v80
	v_fma_f16 v195, v80, 0xb5ac, -v146
	v_fmac_f16_e32 v146, 0xb5ac, v80
	v_add_f16_e32 v17, v17, v48
	v_fma_f16 v196, v80, 0xbbc4, -v147
	v_fmac_f16_e32 v147, 0xbbc4, v80
	v_fma_f16 v197, v80, 0xb9fd, -v148
	v_fmac_f16_e32 v148, 0xb9fd, v80
	;; [unrolled: 2-line block ×3, first 2 shown]
	v_fmamk_f16 v80, v115, 0x388b, v135
	v_fmamk_f16 v200, v115, 0xb5ac, v150
	;; [unrolled: 1-line block ×3, first 2 shown]
	v_fma_f16 v151, v115, 0xbbc4, -v151
	v_add_f16_e32 v17, v17, v60
	v_mul_f16_e32 v169, 0x3770, v122
	v_fma_f16 v135, v115, 0x388b, -v135
	v_fma_f16 v150, v115, 0xb5ac, -v150
	v_fmamk_f16 v202, v115, 0xb9fd, v152
	v_fma_f16 v152, v115, 0xb9fd, -v152
	v_fmamk_f16 v203, v115, 0x2fb7, v153
	v_fma_f16 v153, v115, 0x2fb7, -v153
	v_fma_f16 v115, v117, 0x2fb7, -v154
	v_fmac_f16_e32 v154, 0x2fb7, v117
	v_fma_f16 v205, v117, 0xbbc4, -v155
	v_fmac_f16_e32 v155, 0xbbc4, v117
	;; [unrolled: 2-line block ×5, first 2 shown]
	v_fmamk_f16 v77, v119, 0x2fb7, v159
	v_fma_f16 v78, v119, 0x2fb7, -v159
	v_fmamk_f16 v117, v119, 0xbbc4, v160
	v_fma_f16 v159, v119, 0xbbc4, -v160
	;; [unrolled: 2-line block ×3, first 2 shown]
	v_add_f16_e32 v67, v80, v175
	v_add_f16_e32 v80, v200, v177
	;; [unrolled: 1-line block ×5, first 2 shown]
	v_fmamk_f16 v217, v123, 0x3b15, v169
	v_fma_f16 v169, v123, 0x3b15, -v169
	v_add_f16_e32 v67, v77, v67
	v_add_f16_e32 v77, v117, v80
	;; [unrolled: 1-line block ×5, first 2 shown]
	v_fmac_f16_e32 v20, v121, v9
	v_add_f16_e32 v121, v66, v63
	v_mul_f16_e32 v164, 0xbb7b, v120
	v_mul_f16_e32 v165, 0xbb7b, v122
	;; [unrolled: 1-line block ×9, first 2 shown]
	v_add_f16_e32 v16, v16, v62
	v_add_f16_e32 v62, v169, v117
	;; [unrolled: 1-line block ×3, first 2 shown]
	v_mul_f16_e32 v47, 0x3a95, v120
	v_mul_f16_e32 v117, 0x3a95, v122
	v_add_f16_e32 v122, v49, v50
	v_sub_f16_e32 v49, v49, v50
	v_fmamk_f16 v210, v119, 0x3b15, v162
	v_fma_f16 v162, v119, 0x3b15, -v162
	v_fmamk_f16 v211, v119, 0x388b, v163
	v_fma_f16 v163, v119, 0x388b, -v163
	v_fma_f16 v119, v121, 0xb5ac, -v164
	v_fmamk_f16 v213, v123, 0xb5ac, v165
	v_fmac_f16_e32 v164, 0xb5ac, v121
	v_fma_f16 v214, v121, 0xb9fd, -v166
	v_fmac_f16_e32 v166, 0xb9fd, v121
	v_fma_f16 v216, v121, 0x3b15, -v168
	;; [unrolled: 2-line block ×4, first 2 shown]
	v_fmac_f16_e32 v172, 0xbbc4, v121
	v_add_f16_e32 v66, v75, v174
	v_add_f16_e32 v68, v145, v124
	;; [unrolled: 1-line block ×3, first 2 shown]
	v_fma_f16 v118, v121, 0x388b, -v47
	v_fmac_f16_e32 v47, 0x388b, v121
	v_sub_f16_e32 v120, v46, v48
	v_fmamk_f16 v121, v123, 0x388b, v117
	v_fma_f16 v117, v123, 0x388b, -v117
	v_add_f16_e32 v46, v46, v48
	v_mul_f16_e32 v48, 0xb94e, v49
	v_fma_f16 v165, v123, 0xb5ac, -v165
	v_add_f16_e32 v75, v195, v176
	v_add_f16_e32 v125, v150, v127
	;; [unrolled: 1-line block ×6, first 2 shown]
	v_mul_f16_e32 v50, 0xb94e, v120
	v_add_f16_e32 v47, v47, v72
	v_add_f16_e32 v72, v117, v116
	v_fmamk_f16 v116, v46, 0xb9fd, v48
	v_fmamk_f16 v215, v123, 0xb9fd, v167
	v_fma_f16 v167, v123, 0xb9fd, -v167
	v_fmamk_f16 v219, v123, 0x2fb7, v171
	v_fma_f16 v171, v123, 0x2fb7, -v171
	v_fmamk_f16 v221, v123, 0xbbc4, v173
	v_add_f16_e32 v124, v146, v126
	v_add_f16_e32 v126, v196, v178
	;; [unrolled: 1-line block ×7, first 2 shown]
	v_fma_f16 v119, v123, 0xbbc4, -v173
	v_fma_f16 v123, v122, 0xb9fd, -v50
	v_mul_f16_e32 v117, 0x3bf1, v120
	v_fmac_f16_e32 v50, 0xb9fd, v122
	v_fma_f16 v48, v46, 0xb9fd, -v48
	v_add_f16_e32 v65, v116, v65
	v_mul_f16_e32 v116, 0x3bf1, v49
	v_add_f16_e32 v128, v147, v128
	v_add_f16_e32 v135, v197, v180
	;; [unrolled: 1-line block ×8, first 2 shown]
	v_fma_f16 v123, v122, 0x2fb7, -v117
	v_add_f16_e32 v50, v50, v67
	v_add_f16_e32 v48, v48, v68
	v_mul_f16_e32 v67, 0xba95, v120
	v_fmamk_f16 v68, v46, 0x2fb7, v116
	v_fma_f16 v116, v46, 0x2fb7, -v116
	v_add_f16_e32 v145, v202, v181
	v_add_f16_e32 v115, v156, v128
	;; [unrolled: 1-line block ×6, first 2 shown]
	v_fmac_f16_e32 v117, 0x2fb7, v122
	v_fma_f16 v123, v122, 0x388b, -v67
	v_add_f16_e32 v68, v68, v75
	v_mul_f16_e32 v75, 0xba95, v49
	v_add_f16_e32 v60, v116, v60
	v_mul_f16_e32 v116, 0x33a8, v120
	v_add_f16_e32 v127, v201, v179
	v_add_f16_e32 v130, v148, v130
	;; [unrolled: 1-line block ×9, first 2 shown]
	v_fmamk_f16 v117, v46, 0x388b, v75
	v_fmac_f16_e32 v67, 0x388b, v122
	v_fma_f16 v75, v46, 0x388b, -v75
	v_mul_f16_e32 v123, 0x33a8, v49
	v_fma_f16 v124, v122, 0xbbc4, -v116
	v_add_f16_e32 v146, v198, v182
	v_add_f16_e32 v81, v160, v127
	;; [unrolled: 1-line block ×8, first 2 shown]
	v_fmamk_f16 v51, v46, 0xbbc4, v123
	v_add_f16_e32 v75, v124, v79
	v_mul_f16_e32 v79, 0x3770, v120
	v_add_f16_e32 v147, v203, v183
	v_add_f16_e32 v128, v208, v146
	;; [unrolled: 1-line block ×7, first 2 shown]
	v_fma_f16 v51, v46, 0xbbc4, -v123
	v_fma_f16 v52, v122, 0x3b15, -v79
	v_fmac_f16_e32 v79, 0x3b15, v122
	v_add_f16_e32 v129, v211, v147
	v_add_f16_e32 v61, v170, v126
	;; [unrolled: 1-line block ×5, first 2 shown]
	v_fmac_f16_e32 v116, 0xbbc4, v122
	v_mul_f16_e32 v117, 0x3770, v49
	v_add_f16_e32 v80, v51, v80
	v_mul_f16_e32 v51, 0xbb7b, v120
	v_add_f16_e32 v79, v79, v115
	v_sub_f16_e32 v115, v42, v43
	v_add_f16_e32 v81, v221, v129
	v_add_f16_e32 v61, v116, v61
	v_fmamk_f16 v116, v46, 0x3b15, v117
	v_add_f16_e32 v120, v52, v53
	v_mul_f16_e32 v49, 0xbb7b, v49
	v_fma_f16 v52, v122, 0xb5ac, -v51
	v_fmac_f16_e32 v51, 0xb5ac, v122
	v_fma_f16 v53, v46, 0x3b15, -v117
	v_add_f16_e32 v117, v44, v45
	v_sub_f16_e32 v122, v44, v45
	v_mul_f16_e32 v44, 0xb3a8, v115
	v_add_f16_e32 v133, v153, v133
	v_add_f16_e32 v148, v199, v184
	;; [unrolled: 1-line block ×4, first 2 shown]
	v_fmamk_f16 v116, v46, 0xb5ac, v49
	v_fma_f16 v46, v46, 0xb5ac, -v49
	v_add_f16_e32 v123, v42, v43
	v_mul_f16_e32 v42, 0xb3a8, v122
	v_fma_f16 v43, v117, 0xbbc4, -v44
	v_add_f16_e32 v131, v163, v133
	v_add_f16_e32 v132, v209, v148
	v_add_f16_e32 v133, v212, v149
	v_add_f16_e32 v72, v46, v72
	v_add_f16_e32 v46, v43, v66
	v_fma_f16 v43, v123, 0xbbc4, -v42
	v_add_f16_e32 v118, v118, v132
	v_add_f16_e32 v121, v121, v133
	v_fmamk_f16 v45, v123, 0xbbc4, v42
	v_add_f16_e32 v119, v119, v131
	v_add_f16_e32 v43, v43, v48
	v_mul_f16_e32 v48, 0xb94e, v115
	v_add_f16_e32 v118, v52, v118
	v_add_f16_e32 v116, v116, v121
	;; [unrolled: 1-line block ×3, first 2 shown]
	v_mul_f16_e32 v49, 0x3770, v115
	v_fmac_f16_e32 v44, 0xbbc4, v117
	v_add_f16_e32 v47, v45, v65
	v_mul_f16_e32 v45, 0x3770, v122
	v_fma_f16 v52, v117, 0xb9fd, -v48
	v_add_f16_e32 v119, v53, v119
	v_fma_f16 v51, v117, 0x3b15, -v49
	v_add_f16_e32 v42, v44, v50
	v_fmamk_f16 v44, v123, 0x3b15, v45
	v_fmac_f16_e32 v49, 0x3b15, v117
	v_fma_f16 v45, v123, 0x3b15, -v45
	v_mul_f16_e32 v53, 0xb94e, v122
	v_add_f16_e32 v52, v52, v63
	v_mul_f16_e32 v63, 0x3a95, v115
	v_add_f16_e32 v50, v51, v69
	v_add_f16_e32 v51, v44, v68
	;; [unrolled: 1-line block ×4, first 2 shown]
	v_fmamk_f16 v49, v123, 0xb9fd, v53
	v_fma_f16 v60, v123, 0xb9fd, -v53
	v_fma_f16 v66, v117, 0x388b, -v63
	v_fmac_f16_e32 v63, 0x388b, v117
	v_add_f16_e32 v41, v41, v38
	v_add_f16_e32 v53, v49, v78
	;; [unrolled: 1-line block ×5, first 2 shown]
	v_fmac_f16_e32 v48, 0xb9fd, v117
	v_mul_f16_e32 v65, 0x3a95, v122
	v_mul_f16_e32 v68, 0xbb7b, v115
	v_add_f16_e32 v40, v63, v61
	v_add_f16_e32 v41, v41, v30
	;; [unrolled: 1-line block ×4, first 2 shown]
	v_fmamk_f16 v62, v123, 0x388b, v65
	v_fma_f16 v63, v123, 0x388b, -v65
	v_fma_f16 v65, v117, 0xb5ac, -v68
	v_mul_f16_e32 v66, 0xbb7b, v122
	v_add_f16_e32 v67, v41, v26
	v_add_f16_e32 v61, v61, v24
	;; [unrolled: 1-line block ×4, first 2 shown]
	v_fmamk_f16 v65, v123, 0xb5ac, v66
	v_add_f16_e32 v69, v67, v14
	v_add_f16_e32 v61, v61, v22
	v_fmac_f16_e32 v68, 0xb5ac, v117
	v_mul_f16_e32 v75, 0x3bf1, v115
	v_add_f16_e32 v67, v65, v81
	v_add_f16_e32 v65, v69, v12
	;; [unrolled: 1-line block ×4, first 2 shown]
	v_fma_f16 v68, v117, 0x2fb7, -v75
	v_mul_f16_e32 v77, 0x3bf1, v122
	v_add_f16_e32 v65, v65, v13
	v_add_f16_e32 v69, v69, v21
	v_fmac_f16_e32 v75, 0x2fb7, v117
	v_fma_f16 v66, v123, 0xb5ac, -v66
	v_fmamk_f16 v78, v123, 0x2fb7, v77
	v_add_f16_e32 v79, v65, v15
	v_add_f16_e32 v69, v69, v23
	v_fma_f16 v77, v123, 0x2fb7, -v77
	v_add_f16_e32 v65, v66, v119
	v_add_f16_e32 v66, v68, v118
	v_add_f16_e32 v79, v79, v27
	v_add_f16_e32 v80, v69, v25
	v_add_f16_e32 v69, v75, v121
	v_sub_f16_e32 v75, v33, v35
	v_add_f16_e32 v68, v78, v116
	v_add_f16_e32 v78, v79, v31
	;; [unrolled: 1-line block ×4, first 2 shown]
	v_sub_f16_e32 v38, v38, v39
	v_mul_f16_e32 v81, 0xba95, v75
	v_add_f16_e32 v39, v78, v39
	v_add_f16_e32 v78, v79, v35
	;; [unrolled: 1-line block ×3, first 2 shown]
	v_mul_f16_e32 v115, 0xba95, v38
	v_fma_f16 v116, v80, 0x388b, -v81
	v_add_f16_e32 v33, v39, v36
	v_fmac_f16_e32 v81, 0x388b, v80
	v_add_f16_e32 v35, v77, v72
	v_fmamk_f16 v36, v79, 0x388b, v115
	v_add_f16_e32 v39, v116, v70
	v_mul_f16_e32 v70, 0xbb7b, v75
	v_add_f16_e32 v32, v78, v32
	v_add_f16_e32 v78, v81, v134
	;; [unrolled: 1-line block ×3, first 2 shown]
	v_mul_f16_e32 v73, 0xbb7b, v38
	v_fma_f16 v77, v80, 0xb5ac, -v70
	v_mul_f16_e32 v81, 0xb3a8, v75
	v_mul_f16_e32 v116, 0xb3a8, v38
	;; [unrolled: 1-line block ×8, first 2 shown]
	v_add_f16_e32 v62, v62, v124
	v_fma_f16 v72, v79, 0x388b, -v115
	v_fmamk_f16 v115, v79, 0xb5ac, v73
	v_add_f16_e32 v71, v77, v71
	v_fmac_f16_e32 v70, 0xb5ac, v80
	v_fma_f16 v73, v79, 0xb5ac, -v73
	v_fma_f16 v77, v80, 0xbbc4, -v81
	v_fmamk_f16 v118, v79, 0xbbc4, v116
	v_fmac_f16_e32 v81, 0xbbc4, v80
	v_fma_f16 v116, v79, 0xbbc4, -v116
	v_fma_f16 v120, v80, 0xb9fd, -v117
	v_fmamk_f16 v121, v79, 0xb9fd, v119
	;; [unrolled: 4-line block ×3, first 2 shown]
	v_fmac_f16_e32 v122, 0x2fb7, v80
	v_fma_f16 v126, v80, 0x3b15, -v75
	v_fmac_f16_e32 v75, 0x3b15, v80
	v_fma_f16 v80, v79, 0x2fb7, -v123
	v_fmamk_f16 v127, v79, 0x3b15, v38
	v_fma_f16 v38, v79, 0x3b15, -v38
	v_add_f16_e32 v79, v30, v31
	v_sub_f16_e32 v30, v30, v31
	v_sub_f16_e32 v123, v28, v29
	v_add_f16_e32 v28, v28, v29
	v_add_f16_e32 v38, v38, v74
	v_add_f16_e32 v72, v72, v136
	v_mul_f16_e32 v29, 0xbbf1, v30
	v_mul_f16_e32 v31, 0xbbf1, v123
	v_add_f16_e32 v75, v75, v76
	v_mul_f16_e32 v76, 0xb3a8, v123
	v_add_f16_e32 v115, v115, v190
	v_fmamk_f16 v74, v28, 0x2fb7, v29
	v_fma_f16 v128, v79, 0x2fb7, -v31
	v_fmac_f16_e32 v31, 0x2fb7, v79
	v_fma_f16 v29, v28, 0x2fb7, -v29
	v_add_f16_e32 v73, v73, v138
	v_add_f16_e32 v36, v74, v36
	v_mul_f16_e32 v74, 0xb3a8, v30
	v_add_f16_e32 v39, v128, v39
	v_fma_f16 v128, v79, 0xbbc4, -v76
	v_add_f16_e32 v31, v31, v78
	v_add_f16_e32 v29, v29, v72
	v_mul_f16_e32 v72, 0x3b7b, v123
	v_fmamk_f16 v78, v28, 0xbbc4, v74
	v_add_f16_e32 v77, v77, v186
	v_add_f16_e32 v71, v128, v71
	v_fma_f16 v74, v28, 0xbbc4, -v74
	v_fma_f16 v128, v79, 0xb5ac, -v72
	v_add_f16_e32 v78, v78, v115
	v_mul_f16_e32 v115, 0x3b7b, v30
	v_add_f16_e32 v70, v70, v137
	v_add_f16_e32 v81, v81, v139
	;; [unrolled: 1-line block ×3, first 2 shown]
	v_fmac_f16_e32 v76, 0xbbc4, v79
	v_add_f16_e32 v73, v74, v73
	v_add_f16_e32 v74, v128, v77
	v_fmamk_f16 v77, v28, 0xb5ac, v115
	v_fmac_f16_e32 v72, 0xb5ac, v79
	v_fma_f16 v115, v28, 0xb5ac, -v115
	v_mul_f16_e32 v128, 0x3770, v30
	v_add_f16_e32 v118, v118, v191
	v_add_f16_e32 v121, v121, v192
	;; [unrolled: 1-line block ×3, first 2 shown]
	v_mul_f16_e32 v76, 0x3770, v123
	v_add_f16_e32 v72, v72, v81
	v_add_f16_e32 v81, v115, v116
	v_fmamk_f16 v115, v28, 0x3b15, v128
	v_add_f16_e32 v120, v120, v187
	v_add_f16_e32 v117, v117, v141
	;; [unrolled: 1-line block ×3, first 2 shown]
	v_fma_f16 v129, v79, 0x3b15, -v76
	v_add_f16_e32 v77, v77, v118
	v_fmac_f16_e32 v76, 0x3b15, v79
	v_mul_f16_e32 v118, 0xba95, v123
	v_add_f16_e32 v115, v115, v121
	v_fma_f16 v121, v28, 0x3b15, -v128
	v_add_f16_e32 v124, v124, v188
	v_add_f16_e32 v122, v122, v143
	;; [unrolled: 1-line block ×3, first 2 shown]
	v_mul_f16_e32 v120, 0xba95, v30
	v_add_f16_e32 v76, v76, v117
	v_fma_f16 v117, v79, 0x388b, -v118
	v_fmac_f16_e32 v118, 0x388b, v79
	v_add_f16_e32 v119, v121, v119
	v_mul_f16_e32 v121, 0xb94e, v123
	v_mul_f16_e32 v30, 0xb94e, v30
	v_fmamk_f16 v128, v28, 0x388b, v120
	v_add_f16_e32 v117, v117, v124
	v_add_f16_e32 v118, v118, v122
	v_fma_f16 v122, v79, 0xb9fd, -v121
	v_fmac_f16_e32 v121, 0xb9fd, v79
	v_fma_f16 v79, v28, 0x388b, -v120
	v_fmamk_f16 v124, v28, 0xb9fd, v30
	v_fma_f16 v28, v28, 0xb9fd, -v30
	v_add_f16_e32 v30, v26, v27
	v_sub_f16_e32 v26, v26, v27
	v_sub_f16_e32 v120, v24, v25
	v_add_f16_e32 v24, v24, v25
	v_add_f16_e32 v80, v80, v144
	;; [unrolled: 1-line block ×3, first 2 shown]
	v_mul_f16_e32 v25, 0xbb7b, v26
	v_mul_f16_e32 v27, 0xbb7b, v120
	v_add_f16_e32 v28, v28, v38
	v_add_f16_e32 v79, v79, v80
	;; [unrolled: 1-line block ×3, first 2 shown]
	v_fmamk_f16 v38, v24, 0xb5ac, v25
	v_fma_f16 v122, v30, 0xb5ac, -v27
	v_add_f16_e32 v75, v121, v75
	v_mul_f16_e32 v121, 0x394e, v120
	v_fmac_f16_e32 v27, 0xb5ac, v30
	v_fma_f16 v25, v24, 0xb5ac, -v25
	v_add_f16_e32 v36, v38, v36
	v_mul_f16_e32 v38, 0x394e, v26
	v_add_f16_e32 v39, v122, v39
	v_fma_f16 v122, v30, 0xb9fd, -v121
	v_add_f16_e32 v27, v27, v31
	v_add_f16_e32 v25, v25, v29
	v_mul_f16_e32 v29, 0x3770, v120
	v_fmamk_f16 v31, v24, 0xb9fd, v38
	v_add_f16_e32 v71, v122, v71
	v_fmac_f16_e32 v121, 0xb9fd, v30
	v_fma_f16 v38, v24, 0xb9fd, -v38
	v_fma_f16 v122, v30, 0x3b15, -v29
	v_add_f16_e32 v31, v31, v78
	v_mul_f16_e32 v78, 0x3770, v26
	v_add_f16_e32 v125, v125, v193
	v_add_f16_e32 v70, v121, v70
	;; [unrolled: 1-line block ×4, first 2 shown]
	v_mul_f16_e32 v74, 0xbbf1, v120
	v_fmamk_f16 v121, v24, 0x3b15, v78
	v_fmac_f16_e32 v29, 0x3b15, v30
	v_fma_f16 v78, v24, 0x3b15, -v78
	v_mul_f16_e32 v122, 0xbbf1, v26
	v_add_f16_e32 v123, v128, v125
	v_fma_f16 v125, v30, 0x2fb7, -v74
	v_add_f16_e32 v29, v29, v72
	v_add_f16_e32 v72, v78, v81
	v_fmamk_f16 v78, v24, 0x2fb7, v122
	v_fmac_f16_e32 v74, 0x2fb7, v30
	v_add_f16_e32 v81, v125, v116
	v_mul_f16_e32 v116, 0x33a8, v120
	v_add_f16_e32 v77, v121, v77
	v_add_f16_e32 v78, v78, v115
	v_fma_f16 v115, v24, 0x2fb7, -v122
	v_mul_f16_e32 v121, 0x33a8, v26
	v_add_f16_e32 v74, v74, v76
	v_fma_f16 v76, v30, 0xbbc4, -v116
	v_fmac_f16_e32 v116, 0xbbc4, v30
	v_add_f16_e32 v115, v115, v119
	v_mul_f16_e32 v119, 0x3a95, v120
	v_mul_f16_e32 v26, 0x3a95, v26
	v_fmamk_f16 v122, v24, 0xbbc4, v121
	v_add_f16_e32 v116, v116, v118
	v_sub_f16_e32 v120, v22, v23
	v_fma_f16 v118, v30, 0x388b, -v119
	v_fmac_f16_e32 v119, 0x388b, v30
	v_fma_f16 v30, v24, 0xbbc4, -v121
	v_fmamk_f16 v121, v24, 0x388b, v26
	v_fma_f16 v24, v24, 0x388b, -v26
	v_add_f16_e32 v26, v14, v15
	v_sub_f16_e32 v14, v14, v15
	v_mul_f16_e32 v15, 0xb94e, v120
	v_add_f16_e32 v22, v22, v23
	v_add_f16_e32 v30, v30, v79
	;; [unrolled: 1-line block ×3, first 2 shown]
	v_mul_f16_e32 v23, 0xb94e, v14
	v_fma_f16 v80, v26, 0xb9fd, -v15
	v_add_f16_e32 v24, v24, v28
	v_fmac_f16_e32 v15, 0xb9fd, v26
	v_add_f16_e32 v75, v119, v75
	v_fmamk_f16 v28, v22, 0xb9fd, v23
	v_add_f16_e32 v39, v80, v39
	v_mul_f16_e32 v80, 0x3bf1, v120
	v_fma_f16 v23, v22, 0xb9fd, -v23
	v_add_f16_e32 v15, v15, v27
	v_add_f16_e32 v28, v28, v36
	v_mul_f16_e32 v36, 0x3bf1, v14
	v_fma_f16 v119, v26, 0x2fb7, -v80
	v_add_f16_e32 v23, v23, v25
	v_mul_f16_e32 v25, 0xba95, v120
	v_fmac_f16_e32 v80, 0x2fb7, v26
	v_fmamk_f16 v27, v22, 0x2fb7, v36
	v_add_f16_e32 v71, v119, v71
	v_fma_f16 v36, v22, 0x2fb7, -v36
	v_fma_f16 v119, v26, 0x388b, -v25
	v_add_f16_e32 v127, v127, v194
	v_add_f16_e32 v27, v27, v31
	v_mul_f16_e32 v31, 0xba95, v14
	v_add_f16_e32 v70, v80, v70
	v_add_f16_e32 v36, v36, v38
	;; [unrolled: 1-line block ×3, first 2 shown]
	v_fmac_f16_e32 v25, 0x388b, v26
	v_fmamk_f16 v80, v22, 0x388b, v31
	v_fma_f16 v31, v22, 0x388b, -v31
	v_mul_f16_e32 v119, 0x33a8, v14
	v_add_f16_e32 v124, v124, v127
	v_mul_f16_e32 v73, 0x33a8, v120
	v_add_f16_e32 v25, v25, v29
	v_add_f16_e32 v29, v31, v72
	v_fmamk_f16 v31, v22, 0xbbc4, v119
	v_add_f16_e32 v118, v121, v124
	v_fma_f16 v121, v26, 0xbbc4, -v73
	v_add_f16_e32 v77, v80, v77
	v_fmac_f16_e32 v73, 0xbbc4, v26
	v_mul_f16_e32 v80, 0x3770, v120
	v_add_f16_e32 v31, v31, v78
	v_fma_f16 v78, v22, 0xbbc4, -v119
	v_add_f16_e32 v72, v121, v81
	v_mul_f16_e32 v81, 0x3770, v14
	v_add_f16_e32 v73, v73, v74
	v_fma_f16 v74, v26, 0x3b15, -v80
	v_fmac_f16_e32 v80, 0x3b15, v26
	v_add_f16_e32 v78, v78, v115
	v_mul_f16_e32 v115, 0xbb7b, v120
	v_add_f16_e32 v76, v76, v117
	v_add_f16_e32 v117, v122, v123
	v_fmamk_f16 v119, v22, 0x3b15, v81
	v_add_f16_e32 v80, v80, v116
	v_mul_f16_e32 v14, 0xbb7b, v14
	v_fma_f16 v116, v26, 0xb5ac, -v115
	v_fmac_f16_e32 v115, 0xb5ac, v26
	v_fma_f16 v26, v22, 0x3b15, -v81
	v_sub_f16_e32 v81, v20, v21
	v_add_f16_e32 v74, v74, v76
	v_add_f16_e32 v76, v119, v117
	v_fmamk_f16 v117, v22, 0xb5ac, v14
	v_fma_f16 v14, v22, 0xb5ac, -v14
	v_add_f16_e32 v22, v12, v13
	v_sub_f16_e32 v12, v12, v13
	v_mul_f16_e32 v13, 0xb3a8, v81
	v_add_f16_e32 v26, v26, v30
	v_add_f16_e32 v30, v116, v79
	;; [unrolled: 1-line block ×3, first 2 shown]
	v_mul_f16_e32 v21, 0xb3a8, v12
	v_fma_f16 v79, v22, 0xbbc4, -v13
	v_add_f16_e32 v14, v14, v24
	v_fmac_f16_e32 v13, 0xbbc4, v22
	v_add_f16_e32 v75, v115, v75
	v_fmamk_f16 v24, v20, 0xbbc4, v21
	v_add_f16_e32 v39, v79, v39
	v_mul_f16_e32 v79, 0x3770, v81
	v_fma_f16 v21, v20, 0xbbc4, -v21
	v_add_f16_e32 v13, v13, v15
	v_add_f16_e32 v24, v24, v28
	v_mul_f16_e32 v28, 0x3770, v12
	v_fma_f16 v115, v22, 0x3b15, -v79
	v_add_f16_e32 v15, v21, v23
	v_mul_f16_e32 v21, 0xb94e, v81
	v_fmac_f16_e32 v79, 0x3b15, v22
	v_fmamk_f16 v23, v20, 0x3b15, v28
	v_add_f16_e32 v71, v115, v71
	v_fma_f16 v28, v20, 0x3b15, -v28
	v_fma_f16 v115, v22, 0xb9fd, -v21
	v_add_f16_e32 v116, v117, v118
	v_add_f16_e32 v23, v23, v27
	v_mul_f16_e32 v27, 0xb94e, v12
	v_add_f16_e32 v28, v28, v36
	v_add_f16_e32 v36, v115, v38
	v_mul_f16_e32 v38, 0x3a95, v81
	v_add_f16_e32 v70, v79, v70
	v_fmamk_f16 v79, v20, 0xb9fd, v27
	v_fmac_f16_e32 v21, 0xb9fd, v22
	v_fma_f16 v27, v20, 0xb9fd, -v27
	v_mul_f16_e32 v115, 0x3a95, v12
	v_fma_f16 v117, v22, 0x388b, -v38
	v_fmac_f16_e32 v38, 0x388b, v22
	v_add_f16_e32 v21, v21, v25
	v_add_f16_e32 v25, v27, v29
	v_fmamk_f16 v27, v20, 0x388b, v115
	v_add_f16_e32 v29, v117, v72
	v_mul_f16_e32 v72, 0xbb7b, v81
	v_add_f16_e32 v77, v79, v77
	v_mul_f16_e32 v79, 0xbb7b, v12
	v_add_f16_e32 v27, v27, v31
	v_fma_f16 v31, v20, 0x388b, -v115
	v_add_f16_e32 v38, v38, v73
	v_fma_f16 v73, v22, 0xb5ac, -v72
	v_fmac_f16_e32 v72, 0xb5ac, v22
	v_fmamk_f16 v115, v20, 0xb5ac, v79
	v_add_f16_e32 v31, v31, v78
	v_mul_f16_e32 v78, 0x3bf1, v81
	v_mul_f16_e32 v12, 0x3bf1, v12
	v_add_f16_e32 v72, v72, v80
	v_fma_f16 v79, v20, 0xb5ac, -v79
	v_lshrrev_b32_e32 v80, 1, v107
	v_add_f16_e32 v73, v73, v74
	v_add_f16_e32 v74, v115, v76
	v_fma_f16 v76, v22, 0x2fb7, -v78
	v_fmac_f16_e32 v78, 0x2fb7, v22
	v_fmamk_f16 v22, v20, 0x2fb7, v12
	v_fma_f16 v12, v20, 0x2fb7, -v12
	v_add_f16_e32 v20, v79, v26
	v_mul_u32_u24_e32 v26, 26, v80
	v_pack_b32_f16 v16, v16, v17
	v_pack_b32_f16 v17, v46, v47
	v_add_f16_e32 v12, v12, v14
	v_pack_b32_f16 v46, v60, v62
	v_or_b32_e32 v14, v26, v19
	v_pack_b32_f16 v26, v52, v53
	v_pack_b32_f16 v47, v63, v67
	;; [unrolled: 1-line block ×3, first 2 shown]
	v_add_f16_e32 v22, v22, v116
	v_lshlrev_b32_e32 v115, 2, v14
	v_pack_b32_f16 v14, v50, v51
	ds_write2_b32 v115, v16, v17 offset1:2
	ds_write2_b32 v115, v14, v26 offset0:4 offset1:6
	v_lshrrev_b32_e32 v14, 1, v18
	v_pack_b32_f16 v16, v66, v68
	v_pack_b32_f16 v17, v69, v35
	;; [unrolled: 1-line block ×4, first 2 shown]
	v_mul_u32_u24_e32 v14, 26, v14
	v_pack_b32_f16 v40, v48, v49
	v_pack_b32_f16 v41, v44, v45
	ds_write2_b32 v115, v46, v47 offset0:8 offset1:10
	ds_write2_b32 v115, v16, v17 offset0:12 offset1:14
	;; [unrolled: 1-line block ×4, first 2 shown]
	ds_write_b32 v115, v42 offset:96
	v_or_b32_e32 v14, v14, v19
	v_pack_b32_f16 v16, v39, v24
	v_and_b32_e32 v26, 0xff, v18
	v_pack_b32_f16 v17, v71, v23
	v_pack_b32_f16 v19, v36, v77
	v_lshlrev_b32_e32 v116, 2, v14
	v_pack_b32_f16 v14, v33, v32
	ds_write2_b32 v116, v14, v16 offset1:2
	ds_write2_b32 v116, v17, v19 offset0:4 offset1:6
	v_mul_lo_u16 v14, 0x4f, v26
	v_add_f16_e32 v30, v76, v30
	v_add_f16_e32 v75, v78, v75
	v_pack_b32_f16 v23, v29, v27
	v_pack_b32_f16 v24, v73, v74
	v_lshrrev_b16 v60, 11, v14
	v_pack_b32_f16 v22, v30, v22
	v_pack_b32_f16 v12, v75, v12
	v_add_co_u32 v119, null, 0xffffffe6, v107
	ds_write2_b32 v116, v23, v24 offset0:8 offset1:10
	ds_write2_b32 v116, v22, v12 offset0:12 offset1:14
	v_pack_b32_f16 v12, v72, v20
	v_pack_b32_f16 v16, v38, v31
	v_mul_lo_u16 v19, v60, 26
	v_pack_b32_f16 v14, v21, v25
	v_pack_b32_f16 v17, v70, v28
	;; [unrolled: 1-line block ×3, first 2 shown]
	v_cndmask_b32_e32 v62, v119, v107, vcc_lo
	ds_write2_b32 v116, v12, v16 offset0:16 offset1:18
	ds_write2_b32 v116, v14, v17 offset0:20 offset1:22
	v_sub_nc_u16 v12, v18, v19
	ds_write_b32 v116, v13 offset:96
	v_mul_i32_i24_e32 v13, 48, v62
	v_mul_hi_i32_i24_e32 v14, 48, v62
	s_waitcnt lgkmcnt(0)
	v_and_b32_e32 v61, 0xff, v12
	s_barrier
	v_add_co_u32 v28, s0, s14, v13
	v_add_co_ci_u32_e64 v29, s0, s15, v14, s0
	v_mad_u64_u32 v[32:33], null, v61, 48, s[14:15]
	buffer_gl0_inv
	s_clause 0x4
	global_load_dwordx4 v[24:27], v[28:29], off offset:96
	global_load_dwordx4 v[20:23], v[28:29], off offset:128
	;; [unrolled: 1-line block ×5, first 2 shown]
	ds_read2_b32 v[43:44], v82 offset0:104 offset1:156
	ds_read2_b32 v[35:36], v34 offset0:96 offset1:148
	ds_read2_b32 v[146:147], v82 offset1:52
	v_cmp_lt_u16_e64 s0, 25, v59
	v_cndmask_b32_e64 v59, 0, 0x152, s0
	s_waitcnt lgkmcnt(2)
	v_lshrrev_b32_e32 v34, 16, v43
	s_waitcnt lgkmcnt(1)
	v_lshrrev_b32_e32 v39, 16, v35
	v_lshrrev_b32_e32 v45, 16, v44
	;; [unrolled: 1-line block ×3, first 2 shown]
	s_waitcnt vmcnt(4)
	v_mul_f16_sdwa v40, v43, v24 dst_sel:DWORD dst_unused:UNUSED_PAD src0_sel:DWORD src1_sel:WORD_1
	v_mul_f16_sdwa v41, v34, v24 dst_sel:DWORD dst_unused:UNUSED_PAD src0_sel:DWORD src1_sel:WORD_1
	s_waitcnt vmcnt(3)
	v_mul_f16_sdwa v63, v35, v23 dst_sel:DWORD dst_unused:UNUSED_PAD src0_sel:DWORD src1_sel:WORD_1
	s_waitcnt vmcnt(2)
	v_mul_f16_sdwa v46, v45, v16 dst_sel:DWORD dst_unused:UNUSED_PAD src0_sel:DWORD src1_sel:WORD_1
	v_mul_f16_sdwa v38, v44, v16 dst_sel:DWORD dst_unused:UNUSED_PAD src0_sel:DWORD src1_sel:WORD_1
	v_fmac_f16_e32 v40, v34, v24
	v_mul_f16_sdwa v34, v39, v23 dst_sel:DWORD dst_unused:UNUSED_PAD src0_sel:DWORD src1_sel:WORD_1
	v_fmac_f16_e32 v63, v39, v23
	v_fma_f16 v41, v43, v24, -v41
	s_waitcnt vmcnt(1)
	v_mul_f16_sdwa v66, v36, v15 dst_sel:DWORD dst_unused:UNUSED_PAD src0_sel:DWORD src1_sel:WORD_1
	v_fma_f16 v39, v44, v16, -v46
	v_fma_f16 v65, v35, v23, -v34
	global_load_dwordx4 v[32:35], v[32:33], off offset:112
	v_sub_f16_e32 v43, v40, v63
	v_fmac_f16_e32 v38, v45, v16
	v_mul_f16_sdwa v44, v42, v15 dst_sel:DWORD dst_unused:UNUSED_PAD src0_sel:DWORD src1_sel:WORD_1
	v_sub_f16_e32 v45, v41, v65
	v_add_f16_e32 v46, v41, v65
	v_fmac_f16_e32 v66, v42, v15
	v_mul_f16_e32 v42, 0xba95, v43
	v_mul_f16_e32 v50, 0xbbf1, v43
	;; [unrolled: 1-line block ×3, first 2 shown]
	v_add_f16_e32 v48, v40, v63
	v_mul_f16_e32 v49, 0xb770, v45
	v_fma_f16 v67, v36, v15, -v44
	v_fma_f16 v51, v46, 0x388b, -v42
	v_mul_f16_e32 v53, 0xbb7b, v43
	v_fma_f16 v68, v46, 0x2fb7, -v50
	v_mul_f16_e32 v69, 0xb94e, v43
	v_fmac_f16_e32 v50, 0x2fb7, v46
	v_mul_f16_e32 v43, 0xb3a8, v43
	v_sub_f16_e32 v77, v38, v66
	v_fmamk_f16 v44, v48, 0x3b15, v49
	v_mul_f16_e32 v52, 0xba95, v45
	v_mul_f16_e32 v72, 0xbbf1, v45
	v_fma_f16 v73, v46, 0xbbc4, -v43
	v_fmac_f16_e32 v43, 0xbbc4, v46
	v_mul_f16_e32 v75, 0xbb7b, v45
	v_mul_f16_e32 v76, 0xb94e, v45
	;; [unrolled: 1-line block ×3, first 2 shown]
	v_add_f16_e32 v80, v39, v67
	v_mul_f16_e32 v81, 0xb770, v77
	v_sub_f16_e32 v120, v39, v67
	s_waitcnt lgkmcnt(0)
	v_add_f16_e32 v157, v146, v51
	v_add_f16_e32 v129, v146, v50
	ds_read2_b32 v[50:51], v56 offset0:80 offset1:132
	v_fma_f16 v36, v46, 0x3b15, -v47
	v_fmac_f16_e32 v47, 0x3b15, v46
	v_fma_f16 v49, v48, 0x3b15, -v49
	v_fmac_f16_e32 v42, 0x388b, v46
	;; [unrolled: 2-line block ×4, first 2 shown]
	v_fmamk_f16 v46, v48, 0x388b, v52
	v_fma_f16 v52, v48, 0x388b, -v52
	v_fmamk_f16 v74, v48, 0x2fb7, v72
	v_fma_f16 v72, v48, 0x2fb7, -v72
	;; [unrolled: 2-line block ×5, first 2 shown]
	v_fma_f16 v48, v80, 0x3b15, -v81
	v_add_f16_e32 v121, v38, v66
	v_mul_f16_e32 v124, 0xbbf1, v120
	v_add_f16_sdwa v156, v146, v44 dst_sel:DWORD dst_unused:UNUSED_PAD src0_sel:WORD_1 src1_sel:DWORD
	v_add_f16_e32 v171, v146, v43
	ds_read2_b32 v[43:44], v58 offset0:56 offset1:108
	v_add_f16_e32 v132, v146, v47
	v_fmamk_f16 v143, v121, 0x2fb7, v124
	v_fma_f16 v144, v121, 0x2fb7, -v124
	v_add_f16_sdwa v158, v146, v46 dst_sel:DWORD dst_unused:UNUSED_PAD src0_sel:WORD_1 src1_sel:DWORD
	v_add_f16_sdwa v172, v146, v45 dst_sel:DWORD dst_unused:UNUSED_PAD src0_sel:WORD_1 src1_sel:DWORD
	v_add_f16_e32 v124, v147, v48
	ds_read2_b32 v[45:46], v58 offset0:160 offset1:212
	ds_read2_b32 v[47:48], v64 offset0:8 offset1:60
	v_mul_f16_e32 v133, 0xba95, v77
	v_mul_f16_e32 v125, 0xb94e, v120
	;; [unrolled: 1-line block ×4, first 2 shown]
	v_add_f16_e32 v155, v146, v36
	v_fma_f16 v118, v80, 0x388b, -v133
	v_fmac_f16_e32 v133, 0x388b, v80
	v_fmamk_f16 v149, v121, 0xb9fd, v125
	v_fma_f16 v150, v121, 0xb9fd, -v125
	v_add_f16_sdwa v170, v146, v117 dst_sel:DWORD dst_unused:UNUSED_PAD src0_sel:WORD_1 src1_sel:DWORD
	v_add_f16_e32 v126, v147, v39
	v_add_f16_sdwa v125, v147, v38 dst_sel:DWORD dst_unused:UNUSED_PAD src0_sel:WORD_1 src1_sel:DWORD
	s_waitcnt lgkmcnt(3)
	v_lshrrev_b32_e32 v36, 16, v50
	v_mul_f16_sdwa v117, v50, v25 dst_sel:DWORD dst_unused:UNUSED_PAD src0_sel:DWORD src1_sel:WORD_1
	ds_read2_b32 v[38:39], v37 offset0:88 offset1:140
	v_fmac_f16_e32 v81, 0x3b15, v80
	v_mul_f16_e32 v135, 0xbb7b, v77
	v_fma_f16 v136, v80, 0x2fb7, -v134
	v_fmac_f16_e32 v134, 0x2fb7, v80
	v_mul_f16_e32 v137, 0xb94e, v77
	v_mul_f16_e32 v138, 0xb3a8, v77
	;; [unrolled: 1-line block ×3, first 2 shown]
	v_fmamk_f16 v141, v121, 0x388b, v123
	v_fma_f16 v142, v121, 0x388b, -v123
	v_mul_f16_e32 v123, 0xbb7b, v120
	v_mul_f16_e32 v120, 0xb3a8, v120
	v_add_f16_e32 v153, v146, v41
	v_add_f16_sdwa v154, v146, v40 dst_sel:DWORD dst_unused:UNUSED_PAD src0_sel:WORD_1 src1_sel:DWORD
	v_add_f16_sdwa v128, v146, v52 dst_sel:DWORD dst_unused:UNUSED_PAD src0_sel:WORD_1 src1_sel:DWORD
	v_add_f16_e32 v163, v146, v53
	v_add_f16_sdwa v166, v146, v79 dst_sel:DWORD dst_unused:UNUSED_PAD src0_sel:WORD_1 src1_sel:DWORD
	v_add_f16_e32 v79, v147, v133
	ds_read2_b32 v[52:53], v64 offset0:112 offset1:164
	v_fmac_f16_e32 v117, v36, v25
	v_mul_f16_sdwa v40, v36, v25 dst_sel:DWORD dst_unused:UNUSED_PAD src0_sel:DWORD src1_sel:WORD_1
	s_waitcnt lgkmcnt(4)
	v_lshrrev_b32_e32 v41, 16, v43
	v_mul_f16_sdwa v133, v43, v26 dst_sel:DWORD dst_unused:UNUSED_PAD src0_sel:DWORD src1_sel:WORD_1
	ds_read2_b32 v[36:37], v54 offset0:64 offset1:116
	v_fma_f16 v77, v80, 0xb5ac, -v135
	v_fmac_f16_e32 v135, 0xb5ac, v80
	v_fma_f16 v139, v80, 0xb9fd, -v137
	v_fmac_f16_e32 v137, 0xb9fd, v80
	;; [unrolled: 2-line block ×3, first 2 shown]
	v_fmamk_f16 v80, v121, 0x3b15, v122
	v_fma_f16 v122, v121, 0x3b15, -v122
	v_fmamk_f16 v145, v121, 0xb5ac, v123
	v_fma_f16 v148, v121, 0xb5ac, -v123
	v_fmamk_f16 v151, v121, 0xbbc4, v120
	v_fma_f16 v152, v121, 0xbbc4, -v120
	v_add_f16_sdwa v131, v146, v49 dst_sel:DWORD dst_unused:UNUSED_PAD src0_sel:WORD_1 src1_sel:DWORD
	v_add_f16_e32 v127, v146, v42
	v_add_f16_sdwa v168, v146, v76 dst_sel:DWORD dst_unused:UNUSED_PAD src0_sel:WORD_1 src1_sel:DWORD
	v_add_f16_e32 v121, v147, v81
	v_add_f16_e32 v81, v147, v136
	;; [unrolled: 1-line block ×3, first 2 shown]
	s_waitcnt lgkmcnt(4)
	v_lshrrev_b32_e32 v42, 16, v45
	v_mul_f16_sdwa v134, v45, v27 dst_sel:DWORD dst_unused:UNUSED_PAD src0_sel:DWORD src1_sel:WORD_1
	s_waitcnt lgkmcnt(3)
	v_lshrrev_b32_e32 v49, 16, v47
	s_waitcnt vmcnt(1)
	v_mul_f16_sdwa v136, v47, v28 dst_sel:DWORD dst_unused:UNUSED_PAD src0_sel:DWORD src1_sel:WORD_1
	v_fmac_f16_e32 v133, v41, v26
	v_mul_f16_sdwa v41, v41, v26 dst_sel:DWORD dst_unused:UNUSED_PAD src0_sel:DWORD src1_sel:WORD_1
	v_add_f16_sdwa v130, v146, v72 dst_sel:DWORD dst_unused:UNUSED_PAD src0_sel:WORD_1 src1_sel:DWORD
	v_add_f16_e32 v167, v146, v69
	v_add_f16_e32 v69, v147, v139
	;; [unrolled: 1-line block ×3, first 2 shown]
	v_fmac_f16_e32 v134, v42, v27
	v_mul_f16_sdwa v42, v42, v27 dst_sel:DWORD dst_unused:UNUSED_PAD src0_sel:DWORD src1_sel:WORD_1
	v_fmac_f16_e32 v136, v49, v28
	v_mul_f16_sdwa v49, v49, v28 dst_sel:DWORD dst_unused:UNUSED_PAD src0_sel:DWORD src1_sel:WORD_1
	v_fma_f16 v137, v50, v25, -v40
	v_fma_f16 v139, v43, v26, -v41
	ds_read2_b32 v[40:41], v54 offset0:168 offset1:220
	v_add_f16_e32 v165, v146, v71
	v_add_f16_sdwa v71, v147, v149 dst_sel:DWORD dst_unused:UNUSED_PAD src0_sel:WORD_1 src1_sel:DWORD
	v_fma_f16 v45, v45, v27, -v42
	v_fma_f16 v47, v47, v28, -v49
	s_waitcnt lgkmcnt(3)
	v_lshrrev_b32_e32 v49, 16, v38
	v_mul_f16_sdwa v149, v38, v30 dst_sel:DWORD dst_unused:UNUSED_PAD src0_sel:DWORD src1_sel:WORD_1
	v_add_f16_e32 v50, v153, v137
	ds_read2_b32 v[42:43], v55 offset0:16 offset1:68
	v_add_f16_e32 v159, v146, v68
	v_add_f16_e32 v161, v146, v70
	v_add_f16_sdwa v162, v146, v78 dst_sel:DWORD dst_unused:UNUSED_PAD src0_sel:WORD_1 src1_sel:DWORD
	v_add_f16_sdwa v164, v146, v75 dst_sel:DWORD dst_unused:UNUSED_PAD src0_sel:WORD_1 src1_sel:DWORD
	v_add_f16_e32 v169, v146, v73
	v_add_f16_sdwa v123, v147, v80 dst_sel:DWORD dst_unused:UNUSED_PAD src0_sel:WORD_1 src1_sel:DWORD
	v_add_f16_e32 v120, v147, v118
	v_add_f16_sdwa v118, v147, v141 dst_sel:DWORD dst_unused:UNUSED_PAD src0_sel:WORD_1 src1_sel:DWORD
	v_add_f16_sdwa v80, v147, v142 dst_sel:DWORD dst_unused:UNUSED_PAD src0_sel:WORD_1 src1_sel:DWORD
	;; [unrolled: 1-line block ×4, first 2 shown]
	v_add_f16_e32 v73, v147, v135
	v_add_f16_sdwa v70, v147, v148 dst_sel:DWORD dst_unused:UNUSED_PAD src0_sel:WORD_1 src1_sel:DWORD
	v_add_f16_sdwa v68, v147, v150 dst_sel:DWORD dst_unused:UNUSED_PAD src0_sel:WORD_1 src1_sel:DWORD
	s_waitcnt lgkmcnt(3)
	v_lshrrev_b32_e32 v135, 16, v52
	v_mul_f16_sdwa v148, v52, v29 dst_sel:DWORD dst_unused:UNUSED_PAD src0_sel:DWORD src1_sel:WORD_1
	s_waitcnt lgkmcnt(2)
	v_lshrrev_b32_e32 v141, 16, v36
	v_mul_f16_sdwa v150, v36, v31 dst_sel:DWORD dst_unused:UNUSED_PAD src0_sel:DWORD src1_sel:WORD_1
	v_fmac_f16_e32 v149, v49, v30
	v_add_f16_e32 v142, v154, v117
	v_add_f16_e32 v143, v50, v139
	v_mul_f16_sdwa v144, v49, v30 dst_sel:DWORD dst_unused:UNUSED_PAD src0_sel:DWORD src1_sel:WORD_1
	ds_read2_b32 v[49:50], v55 offset0:120 offset1:172
	v_fmac_f16_e32 v148, v135, v29
	v_mul_f16_sdwa v135, v135, v29 dst_sel:DWORD dst_unused:UNUSED_PAD src0_sel:DWORD src1_sel:WORD_1
	v_fmac_f16_e32 v150, v141, v31
	v_add_f16_e32 v142, v142, v133
	v_add_f16_e32 v143, v143, v45
	v_mul_f16_sdwa v141, v141, v31 dst_sel:DWORD dst_unused:UNUSED_PAD src0_sel:DWORD src1_sel:WORD_1
	v_fma_f16 v52, v52, v29, -v135
	v_fma_f16 v153, v38, v30, -v144
	v_add_f16_e32 v38, v142, v134
	v_add_f16_e32 v135, v143, v47
	v_fma_f16 v154, v36, v31, -v141
	s_waitcnt lgkmcnt(2)
	v_lshrrev_b32_e32 v36, 16, v40
	v_mul_f16_sdwa v142, v40, v20 dst_sel:DWORD dst_unused:UNUSED_PAD src0_sel:DWORD src1_sel:WORD_1
	v_add_f16_e32 v38, v38, v136
	v_add_f16_e32 v135, v135, v52
	s_waitcnt lgkmcnt(1)
	v_lshrrev_b32_e32 v141, 16, v42
	v_mul_f16_sdwa v143, v36, v20 dst_sel:DWORD dst_unused:UNUSED_PAD src0_sel:DWORD src1_sel:WORD_1
	v_fmac_f16_e32 v142, v36, v20
	v_add_f16_e32 v36, v38, v148
	v_add_f16_e32 v38, v135, v153
	v_mul_f16_sdwa v135, v141, v21 dst_sel:DWORD dst_unused:UNUSED_PAD src0_sel:DWORD src1_sel:WORD_1
	v_fma_f16 v173, v40, v20, -v143
	s_waitcnt lgkmcnt(0)
	v_lshrrev_b32_e32 v40, 16, v49
	v_add_f16_e32 v36, v36, v149
	v_mul_f16_sdwa v143, v42, v21 dst_sel:DWORD dst_unused:UNUSED_PAD src0_sel:DWORD src1_sel:WORD_1
	v_fma_f16 v42, v42, v21, -v135
	v_mul_f16_sdwa v144, v49, v22 dst_sel:DWORD dst_unused:UNUSED_PAD src0_sel:DWORD src1_sel:WORD_1
	v_mul_f16_sdwa v135, v40, v22 dst_sel:DWORD dst_unused:UNUSED_PAD src0_sel:DWORD src1_sel:WORD_1
	v_add_f16_e32 v38, v38, v154
	v_add_f16_e32 v36, v36, v150
	v_add_f16_sdwa v160, v146, v74 dst_sel:DWORD dst_unused:UNUSED_PAD src0_sel:WORD_1 src1_sel:DWORD
	v_fmac_f16_e32 v144, v40, v22
	v_fma_f16 v49, v49, v22, -v135
	v_add_f16_e32 v38, v38, v173
	v_add_f16_e32 v135, v36, v142
	v_add_f16_sdwa v36, v147, v151 dst_sel:DWORD dst_unused:UNUSED_PAD src0_sel:WORD_1 src1_sel:DWORD
	v_sub_f16_e32 v151, v117, v144
	v_sub_f16_e32 v175, v137, v49
	v_fmac_f16_e32 v143, v141, v21
	v_add_f16_e32 v38, v38, v42
	v_add_f16_e32 v146, v137, v49
	v_mul_f16_e32 v176, 0xba95, v151
	v_add_f16_e32 v178, v117, v144
	v_mul_f16_e32 v180, 0xba95, v175
	v_add_f16_e32 v135, v135, v143
	v_add_f16_e32 v174, v38, v49
	v_sub_f16_e32 v179, v133, v143
	v_fma_f16 v49, v146, 0x388b, -v176
	v_sub_f16_e32 v181, v139, v42
	v_add_f16_e32 v141, v139, v42
	v_fmamk_f16 v42, v178, 0x388b, v180
	v_add_f16_sdwa v74, v147, v145 dst_sel:DWORD dst_unused:UNUSED_PAD src0_sel:WORD_1 src1_sel:DWORD
	v_add_f16_e32 v177, v135, v144
	v_mul_f16_e32 v145, 0xbbf1, v179
	v_add_f16_e32 v143, v133, v143
	v_mul_f16_e32 v144, 0xbbf1, v181
	v_add_f16_e32 v49, v49, v155
	v_add_f16_e32 v42, v42, v156
	v_sub_f16_e32 v155, v134, v142
	v_sub_f16_e32 v156, v45, v173
	v_add_f16_e32 v40, v147, v140
	v_add_f16_e32 v38, v147, v138
	v_fma_f16 v117, v141, 0x2fb7, -v145
	v_fmamk_f16 v133, v143, 0x2fb7, v144
	v_add_f16_e32 v138, v134, v142
	v_add_f16_e32 v139, v45, v173
	v_mul_f16_e32 v142, 0xbb7b, v155
	v_mul_f16_e32 v140, 0xbb7b, v156
	v_sub_f16_e32 v173, v136, v150
	v_sub_f16_e32 v182, v47, v154
	v_add_f16_e32 v45, v117, v49
	v_add_f16_e32 v42, v133, v42
	v_fma_f16 v49, v139, 0xb5ac, -v142
	v_fmamk_f16 v117, v138, 0xb5ac, v140
	v_add_f16_e32 v135, v47, v154
	v_mul_f16_e32 v137, 0xb94e, v173
	v_add_f16_e32 v134, v136, v150
	v_mul_f16_e32 v136, 0xb94e, v182
	v_sub_f16_e32 v150, v148, v149
	v_sub_f16_e32 v154, v52, v153
	v_add_f16_e32 v45, v49, v45
	v_add_f16_e32 v42, v117, v42
	v_fma_f16 v117, v135, 0xb9fd, -v137
	v_fmamk_f16 v183, v134, 0xb9fd, v136
	v_add_f16_e32 v47, v148, v149
	v_add_f16_e32 v49, v52, v153
	v_mul_f16_e32 v133, 0xb3a8, v150
	v_mul_f16_e32 v52, 0xb3a8, v154
	v_add_f16_e32 v45, v117, v45
	v_add_f16_e32 v42, v183, v42
	v_add_f16_sdwa v122, v147, v122 dst_sel:DWORD dst_unused:UNUSED_PAD src0_sel:WORD_1 src1_sel:DWORD
	v_fma_f16 v117, v49, 0xbbc4, -v133
	v_fmamk_f16 v148, v47, 0xbbc4, v52
	v_add_f16_e32 v77, v147, v77
	v_add_f16_e32 v65, v174, v65
	;; [unrolled: 1-line block ×5, first 2 shown]
	v_add_f16_sdwa v42, v147, v152 dst_sel:DWORD dst_unused:UNUSED_PAD src0_sel:WORD_1 src1_sel:DWORD
	v_mul_f16_e32 v147, 0xbb7b, v151
	v_add_lshl_u32 v117, v62, v59, 2
	v_pack_b32_f16 v59, v65, v63
	v_pack_b32_f16 v45, v45, v148
	v_mul_f16_e32 v63, 0xbb7b, v175
	v_fma_f16 v62, v146, 0xb5ac, -v147
	v_mul_f16_e32 v65, 0xb3a8, v151
	v_mul_f16_e32 v148, 0xb3a8, v175
	;; [unrolled: 1-line block ×3, first 2 shown]
	v_fmamk_f16 v152, v178, 0xb5ac, v63
	v_add_f16_e32 v62, v62, v157
	v_fma_f16 v153, v146, 0xbbc4, -v65
	v_fmamk_f16 v157, v178, 0xbbc4, v148
	v_fma_f16 v174, v141, 0xbbc4, -v149
	v_mul_f16_e32 v177, 0xb3a8, v181
	v_add_f16_e32 v152, v152, v158
	v_add_f16_e32 v153, v153, v159
	;; [unrolled: 1-line block ×4, first 2 shown]
	v_fmamk_f16 v158, v143, 0xbbc4, v177
	v_mul_f16_e32 v159, 0x3b7b, v179
	v_mul_f16_e32 v160, 0x3b7b, v181
	;; [unrolled: 1-line block ×4, first 2 shown]
	v_add_f16_e32 v152, v158, v152
	v_fma_f16 v158, v141, 0xb5ac, -v159
	v_fmamk_f16 v184, v143, 0xb5ac, v160
	v_fma_f16 v185, v139, 0xb9fd, -v174
	v_fmamk_f16 v186, v138, 0xb9fd, v183
	v_mul_f16_e32 v187, 0x3770, v155
	v_add_f16_e32 v153, v158, v153
	v_add_f16_e32 v157, v184, v157
	;; [unrolled: 1-line block ×4, first 2 shown]
	v_fma_f16 v158, v139, 0x3b15, -v187
	v_mul_f16_e32 v184, 0x3770, v156
	v_mul_f16_e32 v185, 0x3bf1, v173
	;; [unrolled: 1-line block ×4, first 2 shown]
	v_add_f16_e32 v153, v158, v153
	v_fmamk_f16 v158, v138, 0x3b15, v184
	v_fma_f16 v189, v135, 0x2fb7, -v185
	v_fmamk_f16 v190, v134, 0x2fb7, v186
	v_mul_f16_e32 v192, 0xba95, v182
	v_fma_f16 v191, v135, 0x388b, -v188
	v_add_f16_e32 v157, v158, v157
	v_add_f16_e32 v62, v189, v62
	v_add_f16_e32 v152, v190, v152
	v_fmamk_f16 v158, v134, 0x388b, v192
	v_mul_f16_e32 v189, 0x3770, v150
	v_mul_f16_e32 v190, 0x3770, v154
	v_add_f16_e32 v153, v191, v153
	v_mul_f16_e32 v191, 0xb94e, v150
	v_mul_f16_e32 v193, 0xb94e, v154
	v_add_f16_e32 v157, v158, v157
	v_fma_f16 v158, v49, 0x3b15, -v189
	v_fmamk_f16 v194, v47, 0x3b15, v190
	v_fma_f16 v195, v49, 0xb9fd, -v191
	v_fmamk_f16 v196, v47, 0xb9fd, v193
	s_waitcnt vmcnt(0)
	v_add_f16_e32 v62, v158, v62
	v_add_f16_e32 v152, v194, v152
	s_barrier
	v_add_f16_e32 v153, v195, v153
	v_add_f16_e32 v157, v196, v157
	buffer_gl0_inv
	v_mul_f16_e32 v158, 0x394e, v151
	ds_write2_b32 v117, v59, v45 offset1:26
	v_pack_b32_f16 v45, v62, v152
	v_mul_f16_e32 v62, 0x394e, v175
	v_pack_b32_f16 v59, v153, v157
	v_fma_f16 v152, v146, 0xb9fd, -v158
	v_mul_f16_e32 v153, 0x3bf1, v151
	v_mul_f16_e32 v157, 0x3bf1, v175
	;; [unrolled: 1-line block ×3, first 2 shown]
	v_fmamk_f16 v195, v178, 0xb9fd, v62
	v_add_f16_e32 v152, v152, v161
	v_fma_f16 v161, v146, 0x2fb7, -v153
	v_fmamk_f16 v196, v178, 0x2fb7, v157
	v_fma_f16 v197, v141, 0x3b15, -v194
	v_add_f16_e32 v162, v195, v162
	v_mul_f16_e32 v195, 0x3770, v181
	v_add_f16_e32 v161, v161, v165
	v_add_f16_e32 v165, v196, v166
	;; [unrolled: 1-line block ×3, first 2 shown]
	v_mul_f16_e32 v166, 0xba95, v179
	v_fmamk_f16 v196, v143, 0x3b15, v195
	v_mul_f16_e32 v197, 0xba95, v181
	v_mul_f16_e32 v198, 0xbbf1, v155
	;; [unrolled: 1-line block ×3, first 2 shown]
	v_fma_f16 v200, v141, 0x388b, -v166
	v_add_f16_e32 v162, v196, v162
	v_fmamk_f16 v196, v143, 0x388b, v197
	v_fma_f16 v201, v139, 0x2fb7, -v198
	v_fmamk_f16 v202, v138, 0x2fb7, v199
	v_add_f16_e32 v161, v200, v161
	v_mul_f16_e32 v200, 0x33a8, v155
	v_add_f16_e32 v165, v196, v165
	v_mul_f16_e32 v196, 0x33a8, v156
	v_add_f16_e32 v152, v201, v152
	v_add_f16_e32 v162, v202, v162
	v_fma_f16 v201, v139, 0xbbc4, -v200
	v_mul_f16_e32 v202, 0x33a8, v173
	v_mul_f16_e32 v203, 0x33a8, v182
	;; [unrolled: 1-line block ×3, first 2 shown]
	v_fmamk_f16 v205, v138, 0xbbc4, v196
	v_add_f16_e32 v161, v201, v161
	v_fma_f16 v201, v135, 0xbbc4, -v202
	v_fmamk_f16 v206, v134, 0xbbc4, v203
	v_fma_f16 v207, v135, 0x3b15, -v204
	v_add_f16_e32 v165, v205, v165
	v_mul_f16_e32 v205, 0x3770, v182
	v_add_f16_e32 v152, v201, v152
	v_add_f16_e32 v162, v206, v162
	;; [unrolled: 1-line block ×3, first 2 shown]
	v_mul_f16_e32 v201, 0x3a95, v150
	v_fmamk_f16 v206, v134, 0x3b15, v205
	v_mul_f16_e32 v207, 0x3a95, v154
	v_mul_f16_e32 v208, 0xbb7b, v150
	;; [unrolled: 1-line block ×3, first 2 shown]
	v_fma_f16 v210, v49, 0x388b, -v201
	v_add_f16_e32 v165, v206, v165
	v_fmamk_f16 v206, v47, 0x388b, v207
	v_fma_f16 v211, v49, 0xb5ac, -v208
	v_fmamk_f16 v212, v47, 0xb5ac, v209
	v_add_f16_e32 v152, v210, v152
	v_mul_f16_e32 v151, 0x3770, v151
	v_add_f16_e32 v162, v206, v162
	v_add_f16_e32 v161, v211, v161
	;; [unrolled: 1-line block ×3, first 2 shown]
	ds_write2_b32 v117, v45, v59 offset0:52 offset1:78
	v_fma_f16 v45, v146, 0x3b15, -v151
	v_mul_f16_e32 v59, 0x3770, v175
	v_pack_b32_f16 v152, v152, v162
	v_mul_f16_e32 v162, 0xb94e, v179
	v_pack_b32_f16 v161, v161, v165
	v_add_f16_e32 v45, v45, v169
	v_fmamk_f16 v165, v178, 0x3b15, v59
	v_mul_f16_e32 v175, 0xb94e, v181
	v_fma_f16 v169, v141, 0xb9fd, -v162
	v_fmac_f16_e32 v151, 0x3b15, v146
	v_fma_f16 v59, v178, 0x3b15, -v59
	v_add_f16_e32 v165, v165, v170
	v_mul_f16_e32 v155, 0x3a95, v155
	v_add_f16_e32 v45, v169, v45
	v_fmamk_f16 v169, v143, 0xb9fd, v175
	v_add_f16_e32 v151, v151, v171
	v_add_f16_e32 v59, v59, v172
	v_fmac_f16_e32 v162, 0xb9fd, v141
	v_fma_f16 v170, v143, 0xb9fd, -v175
	v_mul_f16_e32 v156, 0x3a95, v156
	v_add_f16_e32 v165, v169, v165
	v_fma_f16 v169, v139, 0x388b, -v155
	v_add_f16_e32 v151, v162, v151
	v_add_f16_e32 v59, v170, v59
	v_fmamk_f16 v162, v138, 0x388b, v156
	v_fmac_f16_e32 v155, 0x388b, v139
	v_add_f16_e32 v45, v169, v45
	v_fma_f16 v156, v138, 0x388b, -v156
	v_mul_f16_e32 v169, 0xbb7b, v182
	v_add_f16_e32 v162, v162, v165
	v_add_f16_e32 v151, v155, v151
	v_mul_f16_e32 v154, 0x3bf1, v154
	v_add_f16_e32 v59, v156, v59
	v_fmamk_f16 v155, v134, 0xb5ac, v169
	v_fma_f16 v156, v134, 0xb5ac, -v169
	v_mul_f16_e32 v170, 0xbb7b, v173
	v_fmac_f16_e32 v158, 0xb9fd, v146
	v_fma_f16 v62, v178, 0xb9fd, -v62
	v_add_f16_e32 v155, v155, v162
	v_add_f16_e32 v59, v156, v59
	v_fmamk_f16 v156, v47, 0x2fb7, v154
	v_fma_f16 v157, v178, 0x2fb7, -v157
	v_fmac_f16_e32 v153, 0x2fb7, v146
	v_fma_f16 v165, v135, 0xb5ac, -v170
	v_mul_f16_e32 v150, 0x3bf1, v150
	v_fmac_f16_e32 v170, 0xb5ac, v135
	v_add_f16_e32 v155, v156, v155
	v_add_f16_e32 v156, v158, v163
	;; [unrolled: 1-line block ×4, first 2 shown]
	v_fmac_f16_e32 v194, 0x3b15, v141
	v_fma_f16 v158, v143, 0x3b15, -v195
	v_fma_f16 v162, v143, 0x388b, -v197
	v_add_f16_e32 v153, v153, v167
	v_fmac_f16_e32 v166, 0x388b, v141
	v_add_f16_e32 v45, v165, v45
	v_fma_f16 v165, v49, 0x2fb7, -v150
	v_add_f16_e32 v151, v170, v151
	v_fmac_f16_e32 v150, 0x2fb7, v49
	v_add_f16_e32 v156, v194, v156
	v_add_f16_e32 v62, v158, v62
	;; [unrolled: 1-line block ×3, first 2 shown]
	v_fmac_f16_e32 v198, 0x2fb7, v139
	v_fma_f16 v158, v138, 0x2fb7, -v199
	v_fma_f16 v162, v138, 0xbbc4, -v196
	v_add_f16_e32 v153, v166, v153
	v_fmac_f16_e32 v200, 0xbbc4, v139
	v_add_f16_e32 v150, v150, v151
	v_add_f16_e32 v151, v198, v156
	v_add_f16_e32 v62, v158, v62
	v_add_f16_e32 v156, v162, v157
	v_fmac_f16_e32 v202, 0xbbc4, v135
	v_fma_f16 v157, v134, 0xbbc4, -v203
	v_fma_f16 v158, v134, 0x3b15, -v205
	v_add_f16_e32 v153, v200, v153
	v_fmac_f16_e32 v204, 0x3b15, v135
	v_fma_f16 v154, v47, 0x2fb7, -v154
	v_add_f16_e32 v151, v202, v151
	v_add_f16_e32 v62, v157, v62
	;; [unrolled: 1-line block ×3, first 2 shown]
	v_fmac_f16_e32 v201, 0x388b, v49
	v_fma_f16 v158, v47, 0x388b, -v207
	v_add_f16_e32 v153, v204, v153
	v_fmac_f16_e32 v208, 0xb5ac, v49
	v_fma_f16 v157, v47, 0xb5ac, -v209
	v_add_f16_e32 v45, v165, v45
	v_add_f16_e32 v59, v154, v59
	;; [unrolled: 1-line block ×6, first 2 shown]
	v_pack_b32_f16 v45, v45, v155
	v_pack_b32_f16 v59, v150, v59
	v_lshrrev_b32_e32 v150, 16, v51
	v_pack_b32_f16 v62, v151, v62
	v_lshrrev_b32_e32 v151, 16, v44
	v_pack_b32_f16 v153, v153, v154
	ds_write2_b32 v117, v152, v161 offset0:104 offset1:130
	v_mul_f16_sdwa v152, v150, v17 dst_sel:DWORD dst_unused:UNUSED_PAD src0_sel:DWORD src1_sel:WORD_1
	ds_write2_b32 v117, v45, v59 offset0:156 offset1:182
	ds_write2_b32 v117, v153, v62 offset0:208 offset1:234
	v_mul_f16_sdwa v45, v151, v18 dst_sel:DWORD dst_unused:UNUSED_PAD src0_sel:DWORD src1_sel:WORD_1
	v_lshrrev_b32_e32 v153, 16, v48
	v_lshrrev_b32_e32 v154, 16, v53
	v_fma_f16 v152, v51, v17, -v152
	v_mul_f16_sdwa v51, v51, v17 dst_sel:DWORD dst_unused:UNUSED_PAD src0_sel:DWORD src1_sel:WORD_1
	v_fma_f16 v155, v44, v18, -v45
	v_mul_f16_sdwa v45, v153, v32 dst_sel:DWORD dst_unused:UNUSED_PAD src0_sel:DWORD src1_sel:WORD_1
	v_mul_f16_sdwa v156, v44, v18 dst_sel:DWORD dst_unused:UNUSED_PAD src0_sel:DWORD src1_sel:WORD_1
	;; [unrolled: 1-line block ×3, first 2 shown]
	v_fmac_f16_e32 v51, v150, v17
	v_lshrrev_b32_e32 v150, 16, v41
	v_fma_f16 v161, v48, v32, -v45
	v_lshrrev_b32_e32 v62, 16, v46
	v_fma_f16 v45, v53, v33, -v44
	v_mul_f16_sdwa v44, v53, v33 dst_sel:DWORD dst_unused:UNUSED_PAD src0_sel:DWORD src1_sel:WORD_1
	v_fmac_f16_e32 v156, v151, v18
	v_lshrrev_b32_e32 v151, 16, v43
	v_mul_f16_sdwa v59, v62, v19 dst_sel:DWORD dst_unused:UNUSED_PAD src0_sel:DWORD src1_sel:WORD_1
	v_mul_f16_sdwa v164, v41, v12 dst_sel:DWORD dst_unused:UNUSED_PAD src0_sel:DWORD src1_sel:WORD_1
	v_fmac_f16_e32 v44, v154, v33
	v_mul_f16_sdwa v154, v150, v12 dst_sel:DWORD dst_unused:UNUSED_PAD src0_sel:DWORD src1_sel:WORD_1
	v_mul_f16_sdwa v162, v151, v13 dst_sel:DWORD dst_unused:UNUSED_PAD src0_sel:DWORD src1_sel:WORD_1
	v_fmac_f16_e32 v65, 0xbbc4, v146
	v_fma_f16 v157, v46, v19, -v59
	v_mul_f16_sdwa v59, v48, v32 dst_sel:DWORD dst_unused:UNUSED_PAD src0_sel:DWORD src1_sel:WORD_1
	v_fma_f16 v154, v41, v12, -v154
	v_fma_f16 v41, v178, 0x388b, -v180
	v_lshrrev_b32_e32 v48, 16, v39
	v_fma_f16 v162, v43, v13, -v162
	v_mul_f16_sdwa v165, v43, v13 dst_sel:DWORD dst_unused:UNUSED_PAD src0_sel:DWORD src1_sel:WORD_1
	v_fma_f16 v43, v178, 0xb5ac, -v63
	v_add_f16_e32 v41, v41, v131
	v_add_f16_e32 v63, v65, v129
	v_fma_f16 v65, v143, 0x2fb7, -v144
	v_mul_f16_sdwa v158, v46, v19 dst_sel:DWORD dst_unused:UNUSED_PAD src0_sel:DWORD src1_sel:WORD_1
	v_mul_f16_sdwa v46, v48, v34 dst_sel:DWORD dst_unused:UNUSED_PAD src0_sel:DWORD src1_sel:WORD_1
	v_lshrrev_b32_e32 v53, 16, v37
	v_mul_f16_sdwa v163, v37, v35 dst_sel:DWORD dst_unused:UNUSED_PAD src0_sel:DWORD src1_sel:WORD_1
	v_add_f16_e32 v41, v65, v41
	v_fma_f16 v65, v138, 0xb5ac, -v140
	v_fma_f16 v46, v39, v34, -v46
	v_mul_f16_sdwa v39, v39, v34 dst_sel:DWORD dst_unused:UNUSED_PAD src0_sel:DWORD src1_sel:WORD_1
	v_fmac_f16_e32 v147, 0xb5ac, v146
	v_add_f16_e32 v125, v125, v51
	v_add_f16_e32 v41, v65, v41
	;; [unrolled: 1-line block ×3, first 2 shown]
	v_fmac_f16_e32 v158, v62, v19
	v_mul_f16_sdwa v62, v53, v35 dst_sel:DWORD dst_unused:UNUSED_PAD src0_sel:DWORD src1_sel:WORD_1
	v_fmac_f16_e32 v39, v48, v34
	v_fmac_f16_e32 v163, v53, v35
	v_fma_f16 v48, v178, 0xbbc4, -v148
	v_add_f16_e32 v53, v147, v127
	v_add_f16_e32 v43, v43, v128
	v_fma_f16 v127, v143, 0xbbc4, -v177
	v_add_f16_e32 v65, v65, v155
	v_add_f16_e32 v125, v125, v156
	v_fmac_f16_e32 v59, v153, v32
	v_add_f16_e32 v48, v48, v130
	v_fma_f16 v128, v143, 0xb5ac, -v160
	v_add_f16_e32 v43, v127, v43
	v_fma_f16 v127, v138, 0xb9fd, -v183
	v_add_f16_e32 v65, v65, v157
	v_add_f16_e32 v125, v125, v158
	v_fmac_f16_e32 v149, 0xbbc4, v141
	v_add_f16_e32 v48, v128, v48
	v_fma_f16 v128, v138, 0x3b15, -v184
	v_add_f16_e32 v43, v127, v43
	v_fma_f16 v126, v134, 0xb9fd, -v136
	v_fma_f16 v127, v134, 0x2fb7, -v186
	v_add_f16_e32 v65, v65, v161
	v_add_f16_e32 v125, v125, v59
	v_lshrrev_b32_e32 v153, 16, v50
	v_add_f16_e32 v53, v149, v53
	v_fmac_f16_e32 v174, 0xb9fd, v139
	v_add_f16_e32 v48, v128, v48
	v_fma_f16 v128, v134, 0x388b, -v192
	v_add_f16_e32 v41, v126, v41
	v_add_f16_e32 v126, v127, v43
	;; [unrolled: 1-line block ×4, first 2 shown]
	v_fma_f16 v62, v37, v35, -v62
	v_mul_f16_sdwa v37, v153, v14 dst_sel:DWORD dst_unused:UNUSED_PAD src0_sel:DWORD src1_sel:WORD_1
	v_fmac_f16_e32 v159, 0xb5ac, v141
	v_add_f16_e32 v53, v174, v53
	v_fmac_f16_e32 v185, 0x2fb7, v135
	v_add_f16_e32 v125, v128, v48
	v_add_f16_e32 v48, v65, v39
	v_fma_f16 v166, v50, v14, -v37
	v_mul_f16_sdwa v50, v50, v14 dst_sel:DWORD dst_unused:UNUSED_PAD src0_sel:DWORD src1_sel:WORD_1
	v_fmac_f16_e32 v164, v150, v12
	v_add_f16_e32 v63, v159, v63
	v_fmac_f16_e32 v187, 0x3b15, v139
	v_add_f16_e32 v53, v185, v53
	;; [unrolled: 2-line block ×3, first 2 shown]
	v_add_f16_e32 v48, v48, v163
	v_fmac_f16_e32 v165, v151, v13
	v_fmac_f16_e32 v50, v153, v14
	v_add_f16_e32 v63, v187, v63
	v_fmac_f16_e32 v188, 0x388b, v135
	v_fmac_f16_e32 v133, 0xbbc4, v49
	;; [unrolled: 1-line block ×3, first 2 shown]
	v_fma_f16 v49, v47, 0xbbc4, -v52
	v_fma_f16 v52, v47, 0x3b15, -v190
	v_add_f16_e32 v65, v43, v62
	v_add_f16_e32 v43, v189, v53
	;; [unrolled: 1-line block ×4, first 2 shown]
	v_fma_f16 v127, v47, 0xb9fd, -v193
	v_add_f16_e32 v41, v49, v41
	v_add_f16_e32 v49, v65, v154
	;; [unrolled: 1-line block ×3, first 2 shown]
	v_sub_f16_e32 v52, v51, v50
	v_add_f16_e32 v53, v53, v165
	v_sub_f16_e32 v65, v152, v166
	v_add_f16_e32 v48, v191, v63
	v_add_f16_e32 v49, v49, v162
	;; [unrolled: 1-line block ×3, first 2 shown]
	v_mul_f16_e32 v126, 0xba95, v52
	v_add_f16_e32 v53, v53, v50
	v_add_f16_e32 v128, v51, v50
	v_mul_f16_e32 v129, 0xba95, v65
	v_add_f16_e32 v49, v49, v166
	v_fma_f16 v130, v63, 0x388b, -v126
	v_add_f16_e32 v50, v53, v66
	v_fmac_f16_e32 v126, 0x388b, v63
	v_fmamk_f16 v53, v128, 0x388b, v129
	v_add_f16_e32 v49, v49, v67
	v_add_f16_e32 v66, v130, v124
	v_mul_f16_e32 v67, 0xbb7b, v52
	v_fma_f16 v124, v128, 0x388b, -v129
	v_add_f16_e32 v53, v53, v123
	v_mul_f16_e32 v123, 0xbb7b, v65
	v_add_f16_e32 v51, v127, v125
	v_fma_f16 v125, v63, 0xb5ac, -v67
	v_add_f16_e32 v121, v126, v121
	v_add_f16_e32 v122, v124, v122
	v_mul_f16_e32 v124, 0xb3a8, v52
	v_fmamk_f16 v126, v128, 0xb5ac, v123
	v_add_f16_e32 v120, v125, v120
	v_fmac_f16_e32 v67, 0xb5ac, v63
	v_fma_f16 v123, v128, 0xb5ac, -v123
	v_fma_f16 v125, v63, 0xbbc4, -v124
	v_add_f16_e32 v118, v126, v118
	v_mul_f16_e32 v126, 0xb3a8, v65
	v_add_f16_e32 v67, v67, v79
	v_add_f16_e32 v79, v123, v80
	;; [unrolled: 1-line block ×3, first 2 shown]
	v_mul_f16_e32 v81, 0x394e, v52
	v_fmamk_f16 v123, v128, 0xbbc4, v126
	v_fmac_f16_e32 v124, 0xbbc4, v63
	v_fma_f16 v125, v128, 0xbbc4, -v126
	v_mul_f16_e32 v126, 0x394e, v65
	v_fma_f16 v127, v63, 0xb9fd, -v81
	v_add_f16_e32 v75, v123, v75
	v_add_f16_e32 v76, v124, v76
	;; [unrolled: 1-line block ×3, first 2 shown]
	v_fmamk_f16 v123, v128, 0xb9fd, v126
	v_fmac_f16_e32 v81, 0xb9fd, v63
	v_mul_f16_e32 v124, 0x3bf1, v52
	v_mul_f16_e32 v125, 0x3bf1, v65
	;; [unrolled: 1-line block ×3, first 2 shown]
	v_add_f16_e32 v74, v123, v74
	v_fma_f16 v123, v128, 0xb9fd, -v126
	v_add_f16_e32 v73, v81, v73
	v_fma_f16 v81, v63, 0x2fb7, -v124
	v_fmamk_f16 v126, v128, 0x2fb7, v125
	v_fmac_f16_e32 v124, 0x2fb7, v63
	v_add_f16_e32 v70, v123, v70
	v_sub_f16_e32 v123, v156, v165
	v_add_f16_e32 v69, v81, v69
	v_add_f16_e32 v71, v126, v71
	v_fma_f16 v81, v63, 0x3b15, -v52
	v_fmac_f16_e32 v52, 0x3b15, v63
	v_fma_f16 v63, v128, 0x2fb7, -v125
	v_sub_f16_e32 v126, v155, v162
	v_add_f16_e32 v77, v127, v77
	v_mul_f16_e32 v65, 0x3770, v65
	v_add_f16_e32 v125, v155, v162
	v_mul_f16_e32 v127, 0xbbf1, v123
	v_add_f16_e32 v63, v63, v68
	v_add_f16_e32 v40, v81, v40
	;; [unrolled: 1-line block ×3, first 2 shown]
	v_mul_f16_e32 v81, 0xbbf1, v126
	v_add_f16_e32 v72, v124, v72
	v_fmamk_f16 v124, v128, 0x3b15, v65
	v_fma_f16 v65, v128, 0x3b15, -v65
	v_fma_f16 v128, v125, 0x2fb7, -v127
	v_add_f16_e32 v38, v52, v38
	v_fmamk_f16 v52, v68, 0x2fb7, v81
	v_fmac_f16_e32 v127, 0x2fb7, v125
	v_add_f16_e32 v42, v65, v42
	v_add_f16_e32 v65, v128, v66
	v_mul_f16_e32 v66, 0xb3a8, v123
	v_fma_f16 v81, v68, 0x2fb7, -v81
	v_add_f16_e32 v52, v52, v53
	v_mul_f16_e32 v53, 0xb3a8, v126
	v_add_f16_e32 v36, v124, v36
	v_fma_f16 v124, v125, 0xbbc4, -v66
	v_add_f16_e32 v121, v127, v121
	v_add_f16_e32 v81, v81, v122
	v_mul_f16_e32 v122, 0x3b7b, v123
	v_fmamk_f16 v127, v68, 0xbbc4, v53
	v_add_f16_e32 v120, v124, v120
	v_fmac_f16_e32 v66, 0xbbc4, v125
	v_fma_f16 v53, v68, 0xbbc4, -v53
	v_fma_f16 v124, v125, 0xb5ac, -v122
	v_add_f16_e32 v118, v127, v118
	v_mul_f16_e32 v127, 0x3b7b, v126
	v_add_f16_e32 v66, v66, v67
	v_add_f16_e32 v53, v53, v79
	;; [unrolled: 1-line block ×3, first 2 shown]
	v_mul_f16_e32 v79, 0x3770, v123
	v_fmamk_f16 v80, v68, 0xb5ac, v127
	v_fma_f16 v124, v68, 0xb5ac, -v127
	v_mul_f16_e32 v127, 0x3770, v126
	v_fmac_f16_e32 v122, 0xb5ac, v125
	v_fma_f16 v128, v125, 0x3b15, -v79
	v_add_f16_e32 v75, v80, v75
	v_fmac_f16_e32 v79, 0x3b15, v125
	v_fmamk_f16 v80, v68, 0x3b15, v127
	v_add_f16_e32 v76, v122, v76
	v_mul_f16_e32 v122, 0xba95, v123
	v_add_f16_e32 v78, v124, v78
	v_mul_f16_e32 v124, 0xba95, v126
	v_add_f16_e32 v74, v80, v74
	v_fma_f16 v80, v68, 0x3b15, -v127
	v_add_f16_e32 v73, v79, v73
	v_fma_f16 v79, v125, 0x388b, -v122
	v_fmac_f16_e32 v122, 0x388b, v125
	v_fmamk_f16 v127, v68, 0x388b, v124
	v_add_f16_e32 v70, v80, v70
	v_mul_f16_e32 v80, 0xb94e, v123
	v_add_f16_e32 v69, v79, v69
	v_add_f16_e32 v72, v122, v72
	v_mul_f16_e32 v79, 0xb94e, v126
	v_fma_f16 v123, v68, 0x388b, -v124
	v_fma_f16 v122, v125, 0xb9fd, -v80
	v_sub_f16_e32 v126, v157, v154
	v_fmac_f16_e32 v80, 0xb9fd, v125
	v_sub_f16_e32 v124, v158, v164
	v_fmamk_f16 v125, v68, 0xb9fd, v79
	v_fma_f16 v68, v68, 0xb9fd, -v79
	v_add_f16_e32 v63, v123, v63
	v_add_f16_e32 v40, v122, v40
	;; [unrolled: 1-line block ×3, first 2 shown]
	v_mul_f16_e32 v123, 0xbb7b, v126
	v_add_f16_e32 v71, v127, v71
	v_add_f16_e32 v79, v157, v154
	v_mul_f16_e32 v127, 0xbb7b, v124
	v_add_f16_e32 v42, v68, v42
	v_fmamk_f16 v68, v122, 0xb5ac, v123
	v_add_f16_e32 v77, v128, v77
	v_add_f16_e32 v38, v80, v38
	v_fma_f16 v128, v79, 0xb5ac, -v127
	v_mul_f16_e32 v80, 0x394e, v124
	v_fmac_f16_e32 v127, 0xb5ac, v79
	v_fma_f16 v123, v122, 0xb5ac, -v123
	v_add_f16_e32 v52, v68, v52
	v_mul_f16_e32 v68, 0x394e, v126
	v_add_f16_e32 v36, v125, v36
	v_fma_f16 v125, v79, 0xb9fd, -v80
	v_add_f16_e32 v121, v127, v121
	v_add_f16_e32 v81, v123, v81
	v_mul_f16_e32 v123, 0x3770, v124
	v_fmamk_f16 v127, v122, 0xb9fd, v68
	v_add_f16_e32 v120, v125, v120
	v_fmac_f16_e32 v80, 0xb9fd, v79
	v_fma_f16 v68, v122, 0xb9fd, -v68
	v_fma_f16 v125, v79, 0x3b15, -v123
	v_add_f16_e32 v118, v127, v118
	v_mul_f16_e32 v127, 0x3770, v126
	v_add_f16_e32 v66, v80, v66
	v_add_f16_e32 v53, v68, v53
	;; [unrolled: 1-line block ×3, first 2 shown]
	v_mul_f16_e32 v68, 0xbbf1, v124
	v_fmamk_f16 v80, v122, 0x3b15, v127
	v_fmac_f16_e32 v123, 0x3b15, v79
	v_fma_f16 v125, v122, 0x3b15, -v127
	v_mul_f16_e32 v127, 0xbbf1, v126
	v_add_f16_e32 v65, v128, v65
	v_fma_f16 v128, v79, 0x2fb7, -v68
	v_add_f16_e32 v75, v80, v75
	v_add_f16_e32 v76, v123, v76
	v_fmamk_f16 v80, v122, 0x2fb7, v127
	v_fmac_f16_e32 v68, 0x2fb7, v79
	v_mul_f16_e32 v123, 0x33a8, v124
	v_add_f16_e32 v78, v125, v78
	v_mul_f16_e32 v125, 0x33a8, v126
	v_add_f16_e32 v74, v80, v74
	v_fma_f16 v80, v122, 0x2fb7, -v127
	v_add_f16_e32 v68, v68, v73
	v_fma_f16 v73, v79, 0xbbc4, -v123
	v_fmac_f16_e32 v123, 0xbbc4, v79
	v_fmamk_f16 v127, v122, 0xbbc4, v125
	v_add_f16_e32 v70, v80, v70
	v_mul_f16_e32 v80, 0x3a95, v124
	v_add_f16_e32 v69, v73, v69
	v_mul_f16_e32 v73, 0x3a95, v126
	v_add_f16_e32 v72, v123, v72
	v_sub_f16_e32 v124, v59, v163
	v_fma_f16 v123, v79, 0x388b, -v80
	v_fmac_f16_e32 v80, 0x388b, v79
	v_fma_f16 v79, v122, 0xbbc4, -v125
	v_fmamk_f16 v125, v122, 0x388b, v73
	v_fma_f16 v73, v122, 0x388b, -v73
	v_add_f16_e32 v122, v161, v62
	v_sub_f16_e32 v62, v161, v62
	v_add_f16_e32 v63, v79, v63
	v_add_f16_e32 v59, v59, v163
	v_mul_f16_e32 v126, 0xb94e, v124
	v_add_f16_e32 v42, v73, v42
	v_mul_f16_e32 v79, 0xb94e, v62
	v_add_f16_e32 v40, v123, v40
	v_add_f16_e32 v38, v80, v38
	v_fma_f16 v123, v122, 0xb9fd, -v126
	v_mul_f16_e32 v80, 0x3bf1, v124
	v_fmamk_f16 v73, v59, 0xb9fd, v79
	v_fma_f16 v79, v59, 0xb9fd, -v79
	v_add_f16_e32 v36, v125, v36
	v_add_f16_e32 v65, v123, v65
	v_fma_f16 v123, v122, 0x2fb7, -v80
	v_add_f16_e32 v52, v73, v52
	v_mul_f16_e32 v73, 0x3bf1, v62
	v_add_f16_e32 v79, v79, v81
	v_mul_f16_e32 v81, 0xba95, v124
	v_add_f16_e32 v120, v123, v120
	v_fmac_f16_e32 v80, 0x2fb7, v122
	v_fmamk_f16 v125, v59, 0x2fb7, v73
	v_fma_f16 v73, v59, 0x2fb7, -v73
	v_fma_f16 v123, v122, 0x388b, -v81
	v_fmac_f16_e32 v126, 0xb9fd, v122
	v_add_f16_e32 v66, v80, v66
	v_add_f16_e32 v118, v125, v118
	v_mul_f16_e32 v125, 0xba95, v62
	v_add_f16_e32 v67, v123, v67
	v_add_f16_e32 v53, v73, v53
	v_mul_f16_e32 v73, 0x33a8, v124
	v_fmac_f16_e32 v81, 0x388b, v122
	v_fmamk_f16 v80, v59, 0x388b, v125
	v_fma_f16 v123, v59, 0x388b, -v125
	v_mul_f16_e32 v125, 0x33a8, v62
	v_add_f16_e32 v121, v126, v121
	v_fma_f16 v126, v122, 0xbbc4, -v73
	v_add_f16_e32 v75, v80, v75
	v_add_f16_e32 v76, v81, v76
	v_fmamk_f16 v80, v59, 0xbbc4, v125
	v_fmac_f16_e32 v73, 0xbbc4, v122
	v_mul_f16_e32 v81, 0x3770, v124
	v_fmac_f16_e32 v176, 0x388b, v146
	v_add_f16_e32 v78, v123, v78
	v_add_f16_e32 v74, v80, v74
	v_fma_f16 v80, v59, 0xbbc4, -v125
	v_mul_f16_e32 v123, 0x3770, v62
	v_add_f16_e32 v68, v73, v68
	v_fma_f16 v73, v122, 0x3b15, -v81
	v_fmac_f16_e32 v81, 0x3b15, v122
	v_add_f16_e32 v70, v80, v70
	v_mul_f16_e32 v80, 0xbb7b, v124
	v_mul_f16_e32 v62, 0xbb7b, v62
	v_add_f16_e32 v37, v176, v132
	v_fmac_f16_e32 v145, 0x2fb7, v141
	v_fmamk_f16 v125, v59, 0x3b15, v123
	v_add_f16_e32 v69, v73, v69
	v_add_f16_e32 v72, v81, v72
	v_fma_f16 v73, v122, 0xb5ac, -v80
	v_fmac_f16_e32 v80, 0xb5ac, v122
	v_sub_f16_e32 v81, v44, v39
	v_fma_f16 v122, v59, 0x3b15, -v123
	v_fmamk_f16 v123, v59, 0xb5ac, v62
	v_fma_f16 v59, v59, 0xb5ac, -v62
	v_add_f16_e32 v62, v45, v46
	v_sub_f16_e32 v45, v45, v46
	v_add_f16_e32 v37, v145, v37
	v_fmac_f16_e32 v142, 0xb5ac, v139
	v_mul_f16_e32 v124, 0xb3a8, v81
	v_add_f16_e32 v46, v122, v63
	v_add_f16_e32 v39, v44, v39
	v_mul_f16_e32 v63, 0xb3a8, v45
	v_add_f16_e32 v37, v142, v37
	v_fmac_f16_e32 v137, 0xb9fd, v135
	v_add_f16_e32 v40, v73, v40
	v_fma_f16 v44, v62, 0xbbc4, -v124
	v_add_f16_e32 v42, v59, v42
	v_fmamk_f16 v59, v39, 0xbbc4, v63
	v_fma_f16 v63, v39, 0xbbc4, -v63
	v_mul_f16_e32 v73, 0x3770, v45
	v_add_f16_e32 v37, v137, v37
	v_add_f16_e32 v44, v44, v65
	v_mul_f16_e32 v65, 0x3770, v81
	v_add_f16_e32 v137, v63, v79
	v_fmamk_f16 v63, v39, 0x3b15, v73
	v_mul_f16_e32 v79, 0xb94e, v81
	v_fma_f16 v73, v39, 0x3b15, -v73
	v_add_f16_e32 v77, v128, v77
	v_add_f16_e32 v38, v80, v38
	;; [unrolled: 1-line block ×3, first 2 shown]
	v_fma_f16 v59, v62, 0x3b15, -v65
	v_fmac_f16_e32 v65, 0x3b15, v62
	v_add_f16_e32 v63, v63, v118
	v_fma_f16 v80, v62, 0xb9fd, -v79
	v_mul_f16_e32 v118, 0xb94e, v45
	v_add_f16_e32 v135, v73, v53
	v_mul_f16_e32 v53, 0x3a95, v81
	v_add_f16_e32 v77, v126, v77
	v_add_f16_e32 v134, v65, v66
	;; [unrolled: 1-line block ×3, first 2 shown]
	v_fmamk_f16 v66, v39, 0xb9fd, v118
	v_fmac_f16_e32 v79, 0xb9fd, v62
	v_fma_f16 v73, v62, 0x388b, -v53
	v_mul_f16_e32 v80, 0x3a95, v45
	v_fma_f16 v67, v39, 0xb9fd, -v118
	v_add_f16_e32 v66, v66, v75
	v_add_f16_e32 v75, v79, v76
	v_add_f16_e32 v73, v73, v77
	v_fmamk_f16 v76, v39, 0x388b, v80
	v_mul_f16_e32 v77, 0xbb7b, v81
	v_add_f16_e32 v71, v127, v71
	v_add_f16_e32 v67, v67, v78
	v_fmac_f16_e32 v53, 0x388b, v62
	v_fma_f16 v78, v39, 0x388b, -v80
	v_mul_f16_e32 v79, 0xbb7b, v45
	v_add_f16_e32 v74, v76, v74
	v_fma_f16 v76, v62, 0xb5ac, -v77
	v_add_f16_e32 v71, v125, v71
	v_add_f16_e32 v53, v53, v68
	;; [unrolled: 1-line block ×3, first 2 shown]
	v_fmamk_f16 v70, v39, 0xb5ac, v79
	v_fmac_f16_e32 v77, 0xb5ac, v62
	v_add_f16_e32 v69, v76, v69
	v_mul_f16_e32 v76, 0x3bf1, v81
	v_mul_f16_e32 v45, 0x3bf1, v45
	v_fmac_f16_e32 v124, 0xbbc4, v62
	v_add_f16_e32 v70, v70, v71
	v_add_f16_e32 v71, v77, v72
	v_fma_f16 v77, v62, 0x2fb7, -v76
	v_fmac_f16_e32 v76, 0x2fb7, v62
	v_mov_b32_e32 v62, 0x152
	v_add_f16_e32 v37, v133, v37
	v_add_f16_e32 v36, v123, v36
	v_fma_f16 v72, v39, 0xb5ac, -v79
	v_fmamk_f16 v78, v39, 0x2fb7, v45
	v_fma_f16 v39, v39, 0x2fb7, -v45
	v_mul_u32_u24_sdwa v60, v60, v62 dst_sel:DWORD dst_unused:UNUSED_PAD src0_sel:WORD_0 src1_sel:DWORD
	v_add_f16_e32 v59, v59, v120
	v_pack_b32_f16 v45, v48, v51
	v_pack_b32_f16 v43, v43, v47
	v_add_nc_u32_e32 v47, 0x400, v117
	v_add_f16_e32 v40, v77, v40
	v_add_f16_e32 v36, v78, v36
	;; [unrolled: 1-line block ×3, first 2 shown]
	v_pack_b32_f16 v37, v37, v41
	v_add_f16_e32 v39, v39, v42
	v_add_f16_e32 v46, v72, v46
	v_add_lshl_u32 v118, v60, v61, 2
	v_pack_b32_f16 v41, v49, v50
	v_pack_b32_f16 v44, v44, v52
	;; [unrolled: 1-line block ×4, first 2 shown]
	v_add_f16_e32 v136, v124, v121
	ds_write2_b32 v47, v45, v43 offset0:4 offset1:30
	ds_write_b32 v117, v37 offset:1248
	ds_write2_b32 v118, v41, v44 offset1:26
	ds_write2_b32 v118, v48, v49 offset0:52 offset1:78
	v_pack_b32_f16 v37, v73, v74
	v_pack_b32_f16 v41, v69, v70
	;; [unrolled: 1-line block ×8, first 2 shown]
	v_add_nc_u32_e32 v44, 0x400, v118
	v_pack_b32_f16 v45, v136, v137
	ds_write2_b32 v118, v37, v41 offset0:104 offset1:130
	ds_write2_b32 v118, v36, v38 offset0:156 offset1:182
	;; [unrolled: 1-line block ×4, first 2 shown]
	ds_write_b32 v118, v45 offset:1248
	v_add_nc_u32_e32 v36, 0xe00, v82
	s_waitcnt lgkmcnt(0)
	s_barrier
	buffer_gl0_inv
	ds_read2_b32 v[62:63], v82 offset1:52
	ds_read2_b32 v[80:81], v58 offset0:82 offset1:134
	ds_read2_b32 v[78:79], v64 offset0:164 offset1:216
	;; [unrolled: 1-line block ×11, first 2 shown]
	s_and_saveexec_b32 s1, s0
	s_xor_b32 s0, exec_lo, s1
	s_or_saveexec_b32 s0, s0
	v_add_nc_u32_e32 v120, 0x138, v107
                                        ; implicit-def: $vgpr138
                                        ; implicit-def: $vgpr140
                                        ; implicit-def: $vgpr139
                                        ; implicit-def: $vgpr141
	s_xor_b32 exec_lo, exec_lo, s0
	s_cbranch_execz .LBB0_3
; %bb.2:
	ds_read_b32 v134, v82 offset:1248
	ds_read_b32 v136, v82 offset:2600
	;; [unrolled: 1-line block ×4, first 2 shown]
	v_mov_b32_e32 v119, v120
	s_waitcnt lgkmcnt(3)
	v_lshrrev_b32_e32 v135, 16, v134
	s_waitcnt lgkmcnt(2)
	v_lshrrev_b32_e32 v137, 16, v136
	;; [unrolled: 2-line block ×4, first 2 shown]
.LBB0_3:
	s_or_b32 exec_lo, exec_lo, s0
	v_mul_i32_i24_e32 v36, 12, v119
	v_mad_u64_u32 v[39:40], null, v107, 12, s[14:15]
	v_mul_hi_i32_i24_e32 v37, 12, v119
	s_waitcnt lgkmcnt(10)
	v_lshrrev_b32_e32 v143, 16, v80
	v_add_co_u32 v36, s0, s14, v36
	s_waitcnt lgkmcnt(9)
	v_lshrrev_b32_e32 v144, 16, v78
	v_add_co_ci_u32_e64 v37, s0, s15, v37, s0
	v_add_co_u32 v41, s0, 0x800, v39
	s_clause 0x2
	global_load_dwordx3 v[54:56], v[39:40], off offset:1344
	global_load_dwordx3 v[36:38], v[36:37], off offset:1344
	global_load_dwordx3 v[51:53], v[39:40], off offset:1968
	v_add_co_ci_u32_e64 v42, s0, 0, v40, s0
	v_add_co_u32 v39, s0, 0x1000, v39
	v_add_co_ci_u32_e64 v40, s0, 0, v40, s0
	s_clause 0x2
	global_load_dwordx3 v[48:50], v[41:42], off offset:544
	global_load_dwordx3 v[45:47], v[41:42], off offset:1168
	;; [unrolled: 1-line block ×3, first 2 shown]
	s_waitcnt lgkmcnt(8)
	v_lshrrev_b32_e32 v145, 16, v76
	v_lshrrev_b32_e32 v147, 16, v81
	global_load_dwordx3 v[39:41], v[39:40], off offset:368
	v_lshrrev_b32_e32 v148, 16, v79
	v_lshrrev_b32_e32 v149, 16, v77
	s_waitcnt lgkmcnt(6)
	v_lshrrev_b32_e32 v151, 16, v68
	s_waitcnt lgkmcnt(5)
	;; [unrolled: 2-line block ×3, first 2 shown]
	v_lshrrev_b32_e32 v153, 16, v74
	v_lshrrev_b32_e32 v155, 16, v69
	;; [unrolled: 1-line block ×4, first 2 shown]
	s_waitcnt lgkmcnt(2)
	v_lshrrev_b32_e32 v159, 16, v64
	s_waitcnt lgkmcnt(1)
	v_lshrrev_b32_e32 v160, 16, v66
	;; [unrolled: 2-line block ×3, first 2 shown]
	v_lshrrev_b32_e32 v163, 16, v65
	v_lshrrev_b32_e32 v164, 16, v67
	;; [unrolled: 1-line block ×9, first 2 shown]
	v_lshlrev_b32_e32 v128, 3, v120
	v_add_nc_u32_e32 v120, 0x400, v82
	v_add_nc_u32_e32 v132, 0x340, v114
	v_add_nc_u32_e32 v131, 0x4e0, v114
	v_add_nc_u32_e32 v130, 0x680, v114
	v_add_nc_u32_e32 v129, 0x820, v114
	v_add_nc_u32_e32 v127, 0xb60, v114
	v_add_nc_u32_e32 v126, 0xd00, v114
	v_add_nc_u32_e32 v125, 0xea0, v114
	v_add_nc_u32_e32 v124, 0x1040, v114
	v_add_nc_u32_e32 v123, 0x11e0, v114
	v_add_nc_u32_e32 v122, 0x1380, v114
	v_add_nc_u32_e32 v114, 0x1000, v82
	v_add_nc_u32_e32 v119, 0xc00, v82
	v_add_nc_u32_e32 v133, 0x600, v82
	v_add_nc_u32_e32 v121, 0x200, v82
	s_waitcnt vmcnt(6)
	v_mul_f16_sdwa v166, v143, v54 dst_sel:DWORD dst_unused:UNUSED_PAD src0_sel:DWORD src1_sel:WORD_1
	v_mul_f16_sdwa v167, v80, v54 dst_sel:DWORD dst_unused:UNUSED_PAD src0_sel:DWORD src1_sel:WORD_1
	;; [unrolled: 1-line block ×6, first 2 shown]
	s_waitcnt vmcnt(4)
	v_mul_f16_sdwa v172, v147, v51 dst_sel:DWORD dst_unused:UNUSED_PAD src0_sel:DWORD src1_sel:WORD_1
	v_mul_f16_sdwa v173, v81, v51 dst_sel:DWORD dst_unused:UNUSED_PAD src0_sel:DWORD src1_sel:WORD_1
	;; [unrolled: 1-line block ×12, first 2 shown]
	v_fma_f16 v80, v80, v54, -v166
	v_fmac_f16_e32 v167, v143, v54
	v_fma_f16 v78, v78, v55, -v168
	v_fmac_f16_e32 v169, v144, v55
	;; [unrolled: 2-line block ×6, first 2 shown]
	s_waitcnt vmcnt(3)
	v_mul_f16_sdwa v143, v151, v48 dst_sel:DWORD dst_unused:UNUSED_PAD src0_sel:DWORD src1_sel:WORD_1
	v_mul_f16_sdwa v144, v68, v48 dst_sel:DWORD dst_unused:UNUSED_PAD src0_sel:DWORD src1_sel:WORD_1
	v_mul_f16_sdwa v145, v152, v49 dst_sel:DWORD dst_unused:UNUSED_PAD src0_sel:DWORD src1_sel:WORD_1
	v_mul_f16_sdwa v147, v72, v49 dst_sel:DWORD dst_unused:UNUSED_PAD src0_sel:DWORD src1_sel:WORD_1
	v_mul_f16_sdwa v148, v153, v50 dst_sel:DWORD dst_unused:UNUSED_PAD src0_sel:DWORD src1_sel:WORD_1
	v_mul_f16_sdwa v149, v74, v50 dst_sel:DWORD dst_unused:UNUSED_PAD src0_sel:DWORD src1_sel:WORD_1
	s_waitcnt vmcnt(2)
	v_mul_f16_sdwa v166, v155, v45 dst_sel:DWORD dst_unused:UNUSED_PAD src0_sel:DWORD src1_sel:WORD_1
	v_mul_f16_sdwa v168, v69, v45 dst_sel:DWORD dst_unused:UNUSED_PAD src0_sel:DWORD src1_sel:WORD_1
	v_mul_f16_sdwa v170, v156, v46 dst_sel:DWORD dst_unused:UNUSED_PAD src0_sel:DWORD src1_sel:WORD_1
	v_mul_f16_sdwa v172, v73, v46 dst_sel:DWORD dst_unused:UNUSED_PAD src0_sel:DWORD src1_sel:WORD_1
	v_mul_f16_sdwa v174, v157, v47 dst_sel:DWORD dst_unused:UNUSED_PAD src0_sel:DWORD src1_sel:WORD_1
	v_mul_f16_sdwa v176, v75, v47 dst_sel:DWORD dst_unused:UNUSED_PAD src0_sel:DWORD src1_sel:WORD_1
	;; [unrolled: 7-line block ×4, first 2 shown]
	v_fma_f16 v136, v136, v36, -v178
	v_fmac_f16_e32 v179, v137, v36
	v_fma_f16 v137, v139, v37, -v180
	v_fmac_f16_e32 v181, v141, v37
	;; [unrolled: 2-line block ×9, first 2 shown]
	v_sub_f16_e32 v78, v62, v78
	v_sub_f16_e32 v141, v142, v169
	;; [unrolled: 1-line block ×8, first 2 shown]
	v_fma_f16 v139, v64, v42, -v184
	v_fmac_f16_e32 v185, v159, v42
	v_fma_f16 v66, v66, v43, -v186
	v_fmac_f16_e32 v187, v160, v43
	;; [unrolled: 2-line block ×6, first 2 shown]
	v_sub_f16_e32 v65, v134, v137
	v_sub_f16_e32 v64, v135, v181
	;; [unrolled: 1-line block ×4, first 2 shown]
	v_fma_f16 v151, v62, 2.0, -v78
	v_fma_f16 v142, v142, 2.0, -v141
	;; [unrolled: 1-line block ×4, first 2 shown]
	v_sub_f16_e32 v143, v78, v143
	v_add_f16_e32 v76, v141, v76
	v_fma_f16 v153, v63, 2.0, -v79
	v_fma_f16 v146, v146, 2.0, -v145
	;; [unrolled: 1-line block ×4, first 2 shown]
	v_add_f16_e32 v77, v145, v77
	v_sub_f16_e32 v72, v60, v72
	v_sub_f16_e32 v147, v150, v147
	;; [unrolled: 1-line block ×17, first 2 shown]
	v_fma_f16 v66, v134, 2.0, -v65
	v_fma_f16 v67, v135, 2.0, -v64
	;; [unrolled: 1-line block ×4, first 2 shown]
	v_sub_f16_e32 v62, v65, v138
	v_add_f16_e32 v63, v64, v137
	v_sub_f16_e32 v80, v151, v80
	v_sub_f16_e32 v136, v142, v152
	v_fma_f16 v78, v78, 2.0, -v143
	v_fma_f16 v137, v141, 2.0, -v76
	v_sub_f16_e32 v81, v153, v81
	v_sub_f16_e32 v138, v146, v155
	v_fma_f16 v141, v145, 2.0, -v77
	v_fma_f16 v145, v60, 2.0, -v72
	;; [unrolled: 1-line block ×5, first 2 shown]
	v_sub_f16_e32 v149, v72, v149
	v_add_f16_e32 v74, v147, v74
	v_fma_f16 v152, v61, 2.0, -v73
	v_fma_f16 v154, v154, 2.0, -v156
	;; [unrolled: 1-line block ×4, first 2 shown]
	v_add_f16_e32 v75, v156, v75
	v_fma_f16 v58, v58, 2.0, -v159
	v_fma_f16 v158, v158, 2.0, -v160
	;; [unrolled: 1-line block ×9, first 2 shown]
	v_pack_b32_f16 v76, v143, v76
	v_sub_f16_e32 v60, v66, v134
	v_sub_f16_e32 v61, v67, v135
	v_fma_f16 v134, v151, 2.0, -v80
	v_fma_f16 v135, v142, 2.0, -v136
	;; [unrolled: 1-line block ×4, first 2 shown]
	v_sub_f16_e32 v68, v145, v68
	v_sub_f16_e32 v144, v150, v144
	v_fma_f16 v72, v72, 2.0, -v149
	v_fma_f16 v146, v147, 2.0, -v74
	v_sub_f16_e32 v69, v152, v69
	v_sub_f16_e32 v147, v154, v155
	v_pack_b32_f16 v78, v78, v137
	v_pack_b32_f16 v80, v80, v136
	v_sub_f16_e32 v157, v73, v157
	v_sub_f16_e32 v161, v159, v161
	v_add_f16_e32 v70, v160, v70
	v_pack_b32_f16 v77, v148, v77
	v_fma_f16 v148, v156, 2.0, -v75
	v_sub_f16_e32 v139, v58, v139
	v_sub_f16_e32 v151, v158, v166
	;; [unrolled: 1-line block ×5, first 2 shown]
	v_add_f16_e32 v71, v164, v71
	ds_write_b32 v82, v76 offset:4056
	v_pack_b32_f16 v76, v79, v141
	v_pack_b32_f16 v79, v81, v138
	v_fma_f16 v81, v145, 2.0, -v68
	v_fma_f16 v136, v150, 2.0, -v144
	;; [unrolled: 1-line block ×4, first 2 shown]
	v_pack_b32_f16 v134, v134, v135
	ds_write_b32 v82, v78 offset:1352
	ds_write_b32 v82, v80 offset:2704
	v_pack_b32_f16 v78, v142, v143
	v_pack_b32_f16 v72, v72, v146
	v_fma_f16 v73, v73, 2.0, -v157
	v_fma_f16 v153, v159, 2.0, -v161
	;; [unrolled: 1-line block ×9, first 2 shown]
	v_pack_b32_f16 v74, v149, v74
	v_pack_b32_f16 v68, v68, v144
	v_pack_b32_f16 v69, v69, v147
	ds_write2_b32 v82, v134, v78 offset1:52
	ds_write_b32 v82, v79 offset:2912
	v_pack_b32_f16 v78, v81, v136
	ds_write2_b32 v120, v76, v72 offset0:134 offset1:186
	v_pack_b32_f16 v72, v137, v138
	v_pack_b32_f16 v75, v157, v75
	;; [unrolled: 1-line block ×11, first 2 shown]
	ds_write2_b32 v114, v77, v74 offset0:42 offset1:94
	ds_write2_b32 v119, v68, v69 offset0:12 offset1:64
	;; [unrolled: 1-line block ×3, first 2 shown]
	ds_write_b32 v82, v75 offset:4680
	ds_write2_b32 v133, v73, v80 offset0:110 offset1:162
	ds_write2_b32 v121, v58, v59 offset0:80 offset1:132
	ds_write_b32 v82, v139 offset:2392
	ds_write2_b32 v119, v135, v140 offset0:116 offset1:168
	ds_write2_b32 v114, v70, v71 offset0:198 offset1:250
	s_and_saveexec_b32 s0, vcc_lo
	s_cbranch_execz .LBB0_5
; %bb.4:
	v_fma_f16 v58, v65, 2.0, -v62
	v_fma_f16 v59, v66, 2.0, -v60
	;; [unrolled: 1-line block ×4, first 2 shown]
	v_perm_b32 v66, v61, v60, 0x5040100
	v_pack_b32_f16 v59, v59, v65
	v_pack_b32_f16 v58, v58, v64
	v_perm_b32 v64, v63, v62, 0x5040100
	ds_write_b32 v82, v66 offset:3952
	ds_write_b32 v82, v59 offset:1248
	;; [unrolled: 1-line block ×4, first 2 shown]
.LBB0_5:
	s_or_b32 exec_lo, exec_lo, s0
	v_lshlrev_b32_e32 v66, 2, v107
	s_add_u32 s2, s12, 0x1520
	s_addc_u32 s3, s13, 0
	s_waitcnt lgkmcnt(0)
	s_barrier
	buffer_gl0_inv
	s_clause 0x1
	global_load_dword v67, v66, s[2:3]
	global_load_dword v74, v66, s[2:3] offset:208
	v_add_co_u32 v64, s0, s2, v66
	v_add_co_ci_u32_e64 v65, null, s3, 0, s0
	v_add_co_u32 v58, s0, 0x800, v64
	v_add_co_ci_u32_e64 v59, s0, 0, v65, s0
	v_add_co_u32 v64, s0, 0x1000, v64
	v_add_co_ci_u32_e64 v65, s0, 0, v65, s0
	s_clause 0x17
	global_load_dword v142, v[58:59], off offset:656
	global_load_dword v143, v[58:59], off offset:864
	global_load_dword v144, v66, s[2:3] offset:416
	global_load_dword v145, v[58:59], off offset:1072
	global_load_dword v146, v66, s[2:3] offset:624
	global_load_dword v147, v66, s[2:3] offset:832
	;; [unrolled: 1-line block ×4, first 2 shown]
	global_load_dword v111, v111, s[2:3]
	global_load_dword v150, v[58:59], off offset:1488
	global_load_dword v151, v[58:59], off offset:1696
	;; [unrolled: 1-line block ×3, first 2 shown]
	global_load_dword v153, v66, s[2:3] offset:1456
	global_load_dword v154, v[64:65], off offset:64
	global_load_dword v155, v66, s[2:3] offset:1664
	global_load_dword v156, v[64:65], off offset:272
	global_load_dword v157, v66, s[2:3] offset:1872
	global_load_dword v158, v[64:65], off offset:480
	global_load_dword v159, v[58:59], off offset:32
	global_load_dword v160, v[64:65], off offset:688
	;; [unrolled: 1-line block ×6, first 2 shown]
	ds_read2_b32 v[58:59], v82 offset1:52
	s_waitcnt lgkmcnt(0)
	v_lshrrev_b32_e32 v64, 16, v58
	s_waitcnt vmcnt(25)
	v_mul_f16_sdwa v65, v64, v67 dst_sel:DWORD dst_unused:UNUSED_PAD src0_sel:DWORD src1_sel:WORD_1
	v_mul_f16_sdwa v66, v58, v67 dst_sel:DWORD dst_unused:UNUSED_PAD src0_sel:DWORD src1_sel:WORD_1
	s_waitcnt vmcnt(24)
	v_mul_f16_sdwa v75, v59, v74 dst_sel:DWORD dst_unused:UNUSED_PAD src0_sel:DWORD src1_sel:WORD_1
	v_fma_f16 v58, v58, v67, -v65
	v_fmac_f16_e32 v66, v64, v67
	v_lshrrev_b32_e32 v65, 16, v59
	v_add_nc_u32_e32 v64, 0x800, v82
	v_add_nc_u32_e32 v67, 0xa00, v82
	v_pack_b32_f16 v58, v58, v66
	v_mul_f16_sdwa v66, v65, v74 dst_sel:DWORD dst_unused:UNUSED_PAD src0_sel:DWORD src1_sel:WORD_1
	v_fmac_f16_e32 v75, v65, v74
	v_add_nc_u32_e32 v65, 0xe00, v82
	ds_write_b32 v82, v58
	v_fma_f16 v76, v59, v74, -v66
	ds_read2_b32 v[68:69], v64 offset0:112 offset1:164
	ds_read2_b32 v[70:71], v67 offset0:88 offset1:140
	;; [unrolled: 1-line block ×4, first 2 shown]
	v_add_nc_u32_e32 v66, 0x1200, v82
	v_pack_b32_f16 v165, v76, v75
	ds_read2_b32 v[74:75], v121 offset0:80 offset1:132
	ds_read2_b32 v[76:77], v119 offset0:168 offset1:220
	;; [unrolled: 1-line block ×8, first 2 shown]
	s_waitcnt lgkmcnt(7)
	v_lshrrev_b32_e32 v178, 16, v74
	s_waitcnt vmcnt(18)
	v_mul_f16_sdwa v179, v74, v147 dst_sel:DWORD dst_unused:UNUSED_PAD src0_sel:DWORD src1_sel:WORD_1
	v_lshrrev_b32_e32 v166, 16, v69
	v_mul_f16_sdwa v167, v69, v142 dst_sel:DWORD dst_unused:UNUSED_PAD src0_sel:DWORD src1_sel:WORD_1
	v_lshrrev_b32_e32 v168, 16, v70
	;; [unrolled: 2-line block ×6, first 2 shown]
	s_waitcnt vmcnt(15)
	v_mul_f16_sdwa v177, v58, v111 dst_sel:DWORD dst_unused:UNUSED_PAD src0_sel:DWORD src1_sel:WORD_1
	v_lshrrev_b32_e32 v180, 16, v59
	s_waitcnt vmcnt(14)
	v_mul_f16_sdwa v181, v59, v150 dst_sel:DWORD dst_unused:UNUSED_PAD src0_sel:DWORD src1_sel:WORD_1
	v_lshrrev_b32_e32 v182, 16, v75
	v_mul_f16_sdwa v183, v75, v148 dst_sel:DWORD dst_unused:UNUSED_PAD src0_sel:DWORD src1_sel:WORD_1
	s_waitcnt lgkmcnt(6)
	v_lshrrev_b32_e32 v184, 16, v76
	s_waitcnt vmcnt(13)
	v_mul_f16_sdwa v185, v76, v151 dst_sel:DWORD dst_unused:UNUSED_PAD src0_sel:DWORD src1_sel:WORD_1
	s_waitcnt lgkmcnt(5)
	v_lshrrev_b32_e32 v186, 16, v78
	v_mul_f16_sdwa v187, v78, v149 dst_sel:DWORD dst_unused:UNUSED_PAD src0_sel:DWORD src1_sel:WORD_1
	v_lshrrev_b32_e32 v188, 16, v77
	s_waitcnt vmcnt(12)
	v_mul_f16_sdwa v189, v77, v152 dst_sel:DWORD dst_unused:UNUSED_PAD src0_sel:DWORD src1_sel:WORD_1
	v_lshrrev_b32_e32 v190, 16, v79
	s_waitcnt vmcnt(11)
	v_mul_f16_sdwa v191, v79, v153 dst_sel:DWORD dst_unused:UNUSED_PAD src0_sel:DWORD src1_sel:WORD_1
	s_waitcnt lgkmcnt(4)
	v_lshrrev_b32_e32 v192, 16, v80
	s_waitcnt vmcnt(10)
	v_mul_f16_sdwa v193, v80, v154 dst_sel:DWORD dst_unused:UNUSED_PAD src0_sel:DWORD src1_sel:WORD_1
	s_waitcnt lgkmcnt(3)
	v_lshrrev_b32_e32 v194, 16, v134
	s_waitcnt vmcnt(9)
	v_mul_f16_sdwa v195, v134, v155 dst_sel:DWORD dst_unused:UNUSED_PAD src0_sel:DWORD src1_sel:WORD_1
	v_lshrrev_b32_e32 v196, 16, v81
	s_waitcnt vmcnt(8)
	v_mul_f16_sdwa v197, v81, v156 dst_sel:DWORD dst_unused:UNUSED_PAD src0_sel:DWORD src1_sel:WORD_1
	;; [unrolled: 3-line block ×3, first 2 shown]
	s_waitcnt lgkmcnt(2)
	v_lshrrev_b32_e32 v200, 16, v136
	s_waitcnt vmcnt(6)
	v_mul_f16_sdwa v201, v136, v158 dst_sel:DWORD dst_unused:UNUSED_PAD src0_sel:DWORD src1_sel:WORD_1
	s_waitcnt lgkmcnt(1)
	v_lshrrev_b32_e32 v202, 16, v138
	s_waitcnt vmcnt(5)
	v_mul_f16_sdwa v203, v138, v159 dst_sel:DWORD dst_unused:UNUSED_PAD src0_sel:DWORD src1_sel:WORD_1
	v_lshrrev_b32_e32 v204, 16, v137
	s_waitcnt vmcnt(4)
	v_mul_f16_sdwa v205, v137, v160 dst_sel:DWORD dst_unused:UNUSED_PAD src0_sel:DWORD src1_sel:WORD_1
	;; [unrolled: 3-line block ×3, first 2 shown]
	s_waitcnt lgkmcnt(0)
	v_lshrrev_b32_e32 v208, 16, v140
	s_waitcnt vmcnt(2)
	v_mul_f16_sdwa v209, v140, v162 dst_sel:DWORD dst_unused:UNUSED_PAD src0_sel:DWORD src1_sel:WORD_1
	v_lshrrev_b32_e32 v210, 16, v68
	s_waitcnt vmcnt(1)
	v_mul_f16_sdwa v211, v68, v163 dst_sel:DWORD dst_unused:UNUSED_PAD src0_sel:DWORD src1_sel:WORD_1
	v_lshrrev_b32_e32 v212, 16, v141
	v_mul_f16_sdwa v214, v166, v142 dst_sel:DWORD dst_unused:UNUSED_PAD src0_sel:DWORD src1_sel:WORD_1
	v_fmac_f16_e32 v167, v166, v142
	v_mul_f16_sdwa v166, v168, v143 dst_sel:DWORD dst_unused:UNUSED_PAD src0_sel:DWORD src1_sel:WORD_1
	v_fmac_f16_e32 v169, v168, v143
	;; [unrolled: 2-line block ×6, first 2 shown]
	v_mul_f16_sdwa v176, v178, v147 dst_sel:DWORD dst_unused:UNUSED_PAD src0_sel:DWORD src1_sel:WORD_1
	s_waitcnt vmcnt(0)
	v_mul_f16_sdwa v213, v141, v164 dst_sel:DWORD dst_unused:UNUSED_PAD src0_sel:DWORD src1_sel:WORD_1
	v_fmac_f16_e32 v179, v178, v147
	v_mul_f16_sdwa v178, v180, v150 dst_sel:DWORD dst_unused:UNUSED_PAD src0_sel:DWORD src1_sel:WORD_1
	v_fmac_f16_e32 v181, v180, v150
	;; [unrolled: 2-line block ×17, first 2 shown]
	v_mul_f16_sdwa v210, v212, v164 dst_sel:DWORD dst_unused:UNUSED_PAD src0_sel:DWORD src1_sel:WORD_1
	v_fma_f16 v69, v69, v142, -v214
	v_fma_f16 v70, v70, v143, -v166
	;; [unrolled: 1-line block ×7, first 2 shown]
	v_fmac_f16_e32 v213, v212, v164
	v_fma_f16 v59, v59, v150, -v178
	v_fma_f16 v75, v75, v148, -v180
	;; [unrolled: 1-line block ×17, first 2 shown]
	v_pack_b32_f16 v69, v69, v167
	v_pack_b32_f16 v70, v70, v169
	;; [unrolled: 1-line block ×24, first 2 shown]
	ds_write2_b32 v64, v69, v70 offset0:164 offset1:216
	ds_write2_b32 v82, v165, v72 offset0:52 offset1:104
	;; [unrolled: 1-line block ×12, first 2 shown]
	ds_write_b32 v82, v140 offset:5200
	s_waitcnt lgkmcnt(0)
	s_barrier
	buffer_gl0_inv
	ds_read2_b32 v[58:59], v82 offset1:52
	ds_read2_b32 v[68:69], v67 offset0:88 offset1:140
	ds_read2_b32 v[70:71], v82 offset0:104 offset1:156
	;; [unrolled: 1-line block ×12, first 2 shown]
	s_waitcnt lgkmcnt(0)
	s_barrier
	buffer_gl0_inv
	v_pk_add_f16 v143, v59, v68 neg_lo:[0,1] neg_hi:[0,1]
	v_pk_add_f16 v69, v70, v69 neg_lo:[0,1] neg_hi:[0,1]
	;; [unrolled: 1-line block ×13, first 2 shown]
	v_pk_fma_f16 v142, v59, 2.0, v143 op_sel_hi:[1,0,1] neg_lo:[0,0,1] neg_hi:[0,0,1]
	v_pk_fma_f16 v68, v70, 2.0, v69 op_sel_hi:[1,0,1] neg_lo:[0,0,1] neg_hi:[0,0,1]
	;; [unrolled: 1-line block ×13, first 2 shown]
	ds_write_b64 v112, v[154:155]
	ds_write_b64 v113, v[142:143]
	;; [unrolled: 1-line block ×13, first 2 shown]
	s_waitcnt lgkmcnt(0)
	s_barrier
	buffer_gl0_inv
	ds_read2_b32 v[137:138], v82 offset0:104 offset1:156
	ds_read2_b32 v[139:140], v121 offset0:80 offset1:132
	;; [unrolled: 1-line block ×12, first 2 shown]
	ds_read2_b32 v[58:59], v82 offset1:52
	s_waitcnt lgkmcnt(0)
	s_barrier
	buffer_gl0_inv
	v_lshrrev_b32_e32 v68, 16, v137
	v_lshrrev_b32_e32 v80, 16, v138
	;; [unrolled: 1-line block ×5, first 2 shown]
	v_mul_f16_sdwa v113, v0, v137 dst_sel:DWORD dst_unused:UNUSED_PAD src0_sel:WORD_1 src1_sel:DWORD
	v_mul_f16_sdwa v125, v2, v141 dst_sel:DWORD dst_unused:UNUSED_PAD src0_sel:WORD_1 src1_sel:DWORD
	;; [unrolled: 1-line block ×4, first 2 shown]
	v_lshrrev_b32_e32 v69, 16, v139
	v_lshrrev_b32_e32 v72, 16, v145
	;; [unrolled: 1-line block ×3, first 2 shown]
	v_mul_f16_sdwa v168, v7, v159 dst_sel:DWORD dst_unused:UNUSED_PAD src0_sel:WORD_1 src1_sel:DWORD
	v_lshrrev_b32_e32 v73, 16, v147
	v_lshrrev_b32_e32 v74, 16, v149
	;; [unrolled: 1-line block ×10, first 2 shown]
	v_mul_f16_sdwa v122, v1, v139 dst_sel:DWORD dst_unused:UNUSED_PAD src0_sel:WORD_1 src1_sel:DWORD
	v_mul_f16_sdwa v129, v8, v145 dst_sel:DWORD dst_unused:UNUSED_PAD src0_sel:WORD_1 src1_sel:DWORD
	;; [unrolled: 1-line block ×10, first 2 shown]
	v_fma_f16 v182, v0, v68, -v113
	v_mul_f16_sdwa v185, v2, v70 dst_sel:DWORD dst_unused:UNUSED_PAD src0_sel:WORD_1 src1_sel:DWORD
	v_fma_f16 v186, v2, v70, -v125
	v_fma_f16 v188, v3, v71, -v126
	v_mul_f16_sdwa v192, v7, v79 dst_sel:DWORD dst_unused:UNUSED_PAD src0_sel:WORD_1 src1_sel:DWORD
	v_fma_f16 v168, v7, v79, -v168
	v_mul_f16_sdwa v125, v0, v80 dst_sel:DWORD dst_unused:UNUSED_PAD src0_sel:WORD_1 src1_sel:DWORD
	;; [unrolled: 2-line block ×3, first 2 shown]
	v_lshrrev_b32_e32 v75, 16, v151
	v_lshrrev_b32_e32 v77, 16, v155
	v_lshrrev_b32_e32 v124, 16, v148
	v_lshrrev_b32_e32 v127, 16, v150
	v_lshrrev_b32_e32 v162, 16, v156
	v_lshrrev_b32_e32 v164, 16, v160
	v_mul_f16_sdwa v166, v5, v155 dst_sel:DWORD dst_unused:UNUSED_PAD src0_sel:WORD_1 src1_sel:DWORD
	v_mul_f16_sdwa v172, v3, v144 dst_sel:DWORD dst_unused:UNUSED_PAD src0_sel:WORD_1 src1_sel:DWORD
	;; [unrolled: 1-line block ×7, first 2 shown]
	v_fma_f16 v184, v1, v69, -v122
	v_mul_f16_sdwa v187, v3, v71 dst_sel:DWORD dst_unused:UNUSED_PAD src0_sel:WORD_1 src1_sel:DWORD
	v_mul_f16_sdwa v133, v8, v72 dst_sel:DWORD dst_unused:UNUSED_PAD src0_sel:WORD_1 src1_sel:DWORD
	v_fma_f16 v134, v8, v72, -v129
	v_mul_f16_sdwa v129, v9, v73 dst_sel:DWORD dst_unused:UNUSED_PAD src0_sel:WORD_1 src1_sel:DWORD
	v_fma_f16 v131, v9, v73, -v130
	;; [unrolled: 2-line block ×6, first 2 shown]
	v_fma_f16 v81, v2, v111, -v171
	v_mul_f16_sdwa v76, v3, v112 dst_sel:DWORD dst_unused:UNUSED_PAD src0_sel:WORD_1 src1_sel:DWORD
	v_mul_f16_sdwa v72, v8, v123 dst_sel:DWORD dst_unused:UNUSED_PAD src0_sel:WORD_1 src1_sel:DWORD
	v_fma_f16 v73, v8, v123, -v173
	v_mul_f16_sdwa v74, v11, v128 dst_sel:DWORD dst_unused:UNUSED_PAD src0_sel:WORD_1 src1_sel:DWORD
	v_mul_f16_sdwa v78, v4, v161 dst_sel:DWORD dst_unused:UNUSED_PAD src0_sel:WORD_1 src1_sel:DWORD
	;; [unrolled: 1-line block ×3, first 2 shown]
	v_fmac_f16_e32 v181, v0, v137
	v_fmac_f16_e32 v185, v2, v141
	;; [unrolled: 1-line block ×4, first 2 shown]
	v_sub_f16_e32 v2, v182, v168
	v_mul_f16_sdwa v136, v11, v151 dst_sel:DWORD dst_unused:UNUSED_PAD src0_sel:WORD_1 src1_sel:DWORD
	v_mul_f16_sdwa v176, v11, v152 dst_sel:DWORD dst_unused:UNUSED_PAD src0_sel:WORD_1 src1_sel:DWORD
	;; [unrolled: 1-line block ×6, first 2 shown]
	v_fma_f16 v166, v5, v77, -v166
	v_fma_f16 v77, v3, v112, -v172
	v_mul_f16_sdwa v68, v9, v124 dst_sel:DWORD dst_unused:UNUSED_PAD src0_sel:WORD_1 src1_sel:DWORD
	v_fma_f16 v70, v9, v124, -v174
	v_mul_f16_sdwa v69, v10, v127 dst_sel:DWORD dst_unused:UNUSED_PAD src0_sel:WORD_1 src1_sel:DWORD
	v_fma_f16 v71, v10, v127, -v175
	v_fma_f16 v79, v4, v161, -v177
	v_mul_f16_sdwa v111, v5, v162 dst_sel:DWORD dst_unused:UNUSED_PAD src0_sel:WORD_1 src1_sel:DWORD
	v_fma_f16 v124, v6, v163, -v179
	v_mul_f16_sdwa v127, v7, v164 dst_sel:DWORD dst_unused:UNUSED_PAD src0_sel:WORD_1 src1_sel:DWORD
	v_fmac_f16_e32 v183, v1, v139
	v_fmac_f16_e32 v187, v3, v143
	v_fmac_f16_e32 v189, v4, v153
	v_fmac_f16_e32 v191, v6, v157
	v_fmac_f16_e32 v113, v1, v140
	v_fmac_f16_e32 v76, v3, v144
	v_fmac_f16_e32 v74, v11, v152
	v_fmac_f16_e32 v78, v4, v154
	v_fmac_f16_e32 v123, v6, v158
	v_add_f16_e32 v1, v182, v168
	v_add_f16_e32 v3, v58, v181
	;; [unrolled: 1-line block ×3, first 2 shown]
	v_mul_f16_e32 v6, 0xb770, v2
	v_sub_f16_e32 v152, v184, v167
	v_fma_f16 v136, v11, v75, -v136
	v_fma_f16 v75, v11, v128, -v176
	;; [unrolled: 1-line block ×4, first 2 shown]
	v_fmac_f16_e32 v133, v8, v145
	v_fmac_f16_e32 v129, v9, v147
	;; [unrolled: 1-line block ×11, first 2 shown]
	v_sub_f16_e32 v5, v181, v192
	v_mul_f16_e32 v7, 0x3b15, v1
	v_mul_f16_e32 v8, 0xba95, v2
	;; [unrolled: 1-line block ×11, first 2 shown]
	v_add_f16_e32 v1, v3, v183
	v_fmamk_f16 v3, v4, 0x3b15, v6
	v_add_f16_e32 v154, v183, v191
	v_mul_f16_e32 v155, 0xba95, v152
	v_add_f16_e32 v156, v184, v167
	v_fmamk_f16 v142, v5, 0x3770, v7
	v_fma_f16 v6, v4, 0x3b15, -v6
	v_fmac_f16_e32 v7, 0xb770, v5
	v_fmamk_f16 v143, v4, 0x388b, v8
	v_fmamk_f16 v144, v5, 0x3a95, v9
	v_fma_f16 v8, v4, 0x388b, -v8
	v_fmac_f16_e32 v9, 0xba95, v5
	v_fmamk_f16 v145, v4, 0x2fb7, v10
	;; [unrolled: 4-line block ×4, first 2 shown]
	v_fmamk_f16 v150, v5, 0x394e, v140
	v_fma_f16 v139, v4, 0xb9fd, -v139
	v_add_f16_e32 v3, v58, v3
	v_fmac_f16_e32 v140, 0xb94e, v5
	v_fmamk_f16 v151, v4, 0xbbc4, v2
	v_fmamk_f16 v153, v5, 0x33a8, v141
	v_fma_f16 v2, v4, 0xbbc4, -v2
	v_fmac_f16_e32 v141, 0xb3a8, v5
	v_fmamk_f16 v4, v154, 0x388b, v155
	v_sub_f16_e32 v5, v183, v191
	v_mul_f16_e32 v157, 0x388b, v156
	v_add_f16_sdwa v0, v58, v182 dst_sel:DWORD dst_unused:UNUSED_PAD src0_sel:WORD_1 src1_sel:DWORD
	v_add_f16_sdwa v142, v58, v142 dst_sel:DWORD dst_unused:UNUSED_PAD src0_sel:WORD_1 src1_sel:DWORD
	v_add_f16_e32 v6, v58, v6
	v_add_f16_sdwa v7, v58, v7 dst_sel:DWORD dst_unused:UNUSED_PAD src0_sel:WORD_1 src1_sel:DWORD
	v_add_f16_e32 v143, v58, v143
	;; [unrolled: 2-line block ×12, first 2 shown]
	v_mul_f16_e32 v4, 0xbb7b, v152
	v_fmamk_f16 v141, v5, 0x3a95, v157
	v_fma_f16 v155, v154, 0x388b, -v155
	v_mul_f16_e32 v158, 0xb5ac, v156
	v_fmac_f16_e32 v157, 0xba95, v5
	v_fmamk_f16 v159, v154, 0xb5ac, v4
	v_add_f16_e32 v141, v141, v142
	v_add_f16_e32 v6, v155, v6
	v_fmamk_f16 v142, v5, 0x3b7b, v158
	v_mul_f16_e32 v155, 0xb3a8, v152
	v_fma_f16 v4, v154, 0xb5ac, -v4
	v_fmac_f16_e32 v158, 0xbb7b, v5
	v_add_f16_e32 v7, v157, v7
	v_add_f16_e32 v142, v142, v144
	v_mul_f16_e32 v144, 0xbbc4, v156
	v_fmamk_f16 v157, v154, 0xbbc4, v155
	v_add_f16_e32 v4, v4, v8
	v_add_f16_e32 v8, v158, v9
	v_mul_f16_e32 v9, 0x394e, v152
	v_fmamk_f16 v158, v5, 0x33a8, v144
	v_add_f16_e32 v145, v157, v145
	v_fmac_f16_e32 v144, 0xb3a8, v5
	v_fma_f16 v155, v154, 0xbbc4, -v155
	v_fmamk_f16 v157, v154, 0xb9fd, v9
	v_fma_f16 v9, v154, 0xb9fd, -v9
	v_add_f16_e32 v146, v158, v146
	v_add_f16_e32 v11, v144, v11
	v_mul_f16_e32 v158, 0xb9fd, v156
	v_add_f16_e32 v144, v157, v147
	v_mul_f16_e32 v157, 0x2fb7, v156
	v_mul_f16_e32 v147, 0x3bf1, v152
	v_add_f16_e32 v9, v9, v137
	v_add_f16_e32 v143, v159, v143
	;; [unrolled: 1-line block ×3, first 2 shown]
	v_fmamk_f16 v137, v5, 0xbbf1, v157
	v_fmamk_f16 v155, v5, 0xb94e, v158
	;; [unrolled: 1-line block ×3, first 2 shown]
	v_mul_f16_e32 v152, 0x3770, v152
	v_fma_f16 v147, v154, 0x2fb7, -v147
	v_add_f16_e32 v137, v137, v150
	v_mul_f16_e32 v150, 0x3b15, v156
	v_add_f16_e32 v148, v155, v148
	v_fmac_f16_e32 v157, 0x3bf1, v5
	v_fmamk_f16 v155, v154, 0x3b15, v152
	v_add_f16_e32 v139, v147, v139
	v_sub_f16_e32 v147, v186, v166
	v_fmamk_f16 v156, v5, 0xb770, v150
	v_fmac_f16_e32 v158, 0x394e, v5
	v_add_f16_e32 v140, v157, v140
	v_add_f16_e32 v151, v155, v151
	;; [unrolled: 1-line block ×3, first 2 shown]
	v_mul_f16_e32 v157, 0xbbf1, v147
	v_add_f16_e32 v153, v156, v153
	v_add_f16_e32 v156, v186, v166
	;; [unrolled: 1-line block ×3, first 2 shown]
	v_fma_f16 v152, v154, 0x3b15, -v152
	v_fmac_f16_e32 v150, 0x3770, v5
	v_fmamk_f16 v5, v155, 0x2fb7, v157
	v_sub_f16_e32 v154, v185, v190
	v_mul_f16_e32 v158, 0x2fb7, v156
	v_add_f16_e32 v2, v152, v2
	v_add_f16_e32 v58, v150, v58
	;; [unrolled: 1-line block ×3, first 2 shown]
	v_mul_f16_e32 v5, 0xb3a8, v147
	v_fmamk_f16 v150, v154, 0x3bf1, v158
	v_fma_f16 v152, v155, 0x2fb7, -v157
	v_mul_f16_e32 v157, 0xbbc4, v156
	v_add_f16_e32 v149, v159, v149
	v_fmac_f16_e32 v158, 0xbbf1, v154
	v_fmamk_f16 v159, v155, 0xbbc4, v5
	v_add_f16_e32 v141, v150, v141
	v_add_f16_e32 v6, v152, v6
	v_fmamk_f16 v150, v154, 0x33a8, v157
	v_mul_f16_e32 v152, 0x3b7b, v147
	v_fma_f16 v5, v155, 0xbbc4, -v5
	v_fmac_f16_e32 v157, 0xb3a8, v154
	v_add_f16_e32 v7, v158, v7
	v_add_f16_e32 v142, v150, v142
	v_fmamk_f16 v158, v155, 0xb5ac, v152
	v_add_f16_e32 v4, v5, v4
	v_add_f16_e32 v5, v157, v8
	v_mul_f16_e32 v8, 0x3770, v147
	v_mul_f16_e32 v150, 0xb5ac, v156
	v_add_f16_e32 v145, v158, v145
	v_fma_f16 v152, v155, 0xb5ac, -v152
	v_add_f16_e32 v143, v159, v143
	v_fmamk_f16 v158, v155, 0x3b15, v8
	v_fmamk_f16 v157, v154, 0xbb7b, v150
	v_fmac_f16_e32 v150, 0x3b7b, v154
	v_fma_f16 v8, v155, 0x3b15, -v8
	v_add_f16_e32 v10, v152, v10
	v_add_f16_e32 v144, v158, v144
	v_mul_f16_e32 v158, 0x388b, v156
	v_add_f16_e32 v146, v157, v146
	v_mul_f16_e32 v157, 0x3b15, v156
	;; [unrolled: 2-line block ×3, first 2 shown]
	v_add_f16_e32 v8, v8, v9
	v_fmamk_f16 v9, v154, 0x3a95, v158
	v_fmamk_f16 v152, v154, 0xb770, v157
	v_mul_f16_e32 v147, 0xb94e, v147
	v_fmamk_f16 v159, v155, 0x388b, v150
	v_fma_f16 v150, v155, 0x388b, -v150
	v_add_f16_e32 v9, v9, v137
	v_mul_f16_e32 v137, 0xb9fd, v156
	v_fmac_f16_e32 v157, 0x3770, v154
	v_add_f16_e32 v148, v152, v148
	v_fmamk_f16 v152, v155, 0xb9fd, v147
	v_add_f16_e32 v139, v150, v139
	v_sub_f16_e32 v150, v188, v165
	v_fmamk_f16 v156, v154, 0x394e, v137
	v_add_f16_e32 v138, v157, v138
	v_fmac_f16_e32 v158, 0xba95, v154
	v_add_f16_e32 v151, v152, v151
	v_add_f16_e32 v152, v187, v189
	v_mul_f16_e32 v157, 0xbb7b, v150
	v_add_f16_e32 v153, v156, v153
	v_add_f16_e32 v156, v188, v165
	;; [unrolled: 1-line block ×3, first 2 shown]
	v_fma_f16 v147, v155, 0xb9fd, -v147
	v_fmac_f16_e32 v137, 0xb94e, v154
	v_fmamk_f16 v154, v152, 0xb5ac, v157
	v_sub_f16_e32 v155, v187, v189
	v_mul_f16_e32 v158, 0xb5ac, v156
	v_add_f16_e32 v2, v147, v2
	v_add_f16_e32 v58, v137, v58
	;; [unrolled: 1-line block ×3, first 2 shown]
	v_mul_f16_e32 v137, 0x394e, v150
	v_fmamk_f16 v147, v155, 0x3b7b, v158
	v_fma_f16 v154, v152, 0xb5ac, -v157
	v_mul_f16_e32 v157, 0xb9fd, v156
	v_add_f16_e32 v0, v0, v184
	v_add_f16_e32 v149, v159, v149
	v_fmac_f16_e32 v158, 0xbb7b, v155
	v_fmamk_f16 v159, v152, 0xb9fd, v137
	v_add_f16_e32 v141, v147, v141
	v_add_f16_e32 v6, v154, v6
	v_fmamk_f16 v147, v155, 0xb94e, v157
	v_mul_f16_e32 v154, 0x3770, v150
	v_fma_f16 v137, v152, 0xb9fd, -v137
	v_add_f16_e32 v0, v0, v186
	v_add_f16_e32 v1, v1, v185
	;; [unrolled: 1-line block ×3, first 2 shown]
	v_fmac_f16_e32 v157, 0x394e, v155
	v_add_f16_e32 v142, v147, v142
	v_mul_f16_e32 v147, 0x3b15, v156
	v_fmamk_f16 v158, v152, 0x3b15, v154
	v_add_f16_e32 v4, v137, v4
	v_mul_f16_e32 v137, 0xbbf1, v150
	v_add_f16_e32 v0, v0, v188
	v_add_f16_e32 v1, v1, v187
	v_add_f16_e32 v5, v157, v5
	v_fmamk_f16 v157, v155, 0xb770, v147
	v_add_f16_e32 v145, v158, v145
	v_fmac_f16_e32 v147, 0x3770, v155
	v_fmamk_f16 v158, v152, 0x2fb7, v137
	v_add_f16_e32 v0, v0, v134
	v_add_f16_e32 v1, v1, v133
	v_fma_f16 v154, v152, 0x3b15, -v154
	v_add_f16_e32 v146, v157, v146
	v_mul_f16_e32 v157, 0x2fb7, v156
	v_add_f16_e32 v11, v147, v11
	v_add_f16_e32 v144, v158, v144
	v_mul_f16_e32 v147, 0x33a8, v150
	v_fma_f16 v137, v152, 0x2fb7, -v137
	v_mul_f16_e32 v158, 0xbbc4, v156
	v_add_f16_e32 v0, v0, v131
	v_add_f16_e32 v1, v1, v129
	;; [unrolled: 1-line block ×4, first 2 shown]
	v_fmamk_f16 v154, v155, 0x3bf1, v157
	v_fmamk_f16 v159, v152, 0xbbc4, v147
	v_add_f16_e32 v8, v137, v8
	v_fmamk_f16 v137, v155, 0xb3a8, v158
	v_mul_f16_e32 v150, 0x3a95, v150
	v_fma_f16 v147, v152, 0xbbc4, -v147
	v_add_f16_e32 v0, v0, v132
	v_add_f16_e32 v1, v1, v130
	;; [unrolled: 1-line block ×4, first 2 shown]
	v_mul_f16_e32 v137, 0x388b, v156
	v_fmamk_f16 v154, v152, 0x388b, v150
	v_add_f16_e32 v139, v147, v139
	v_sub_f16_e32 v147, v134, v136
	v_add_f16_e32 v134, v134, v136
	v_add_f16_e32 v0, v0, v136
	v_add_f16_e32 v1, v1, v135
	v_fmac_f16_e32 v157, 0xbbf1, v155
	v_fmamk_f16 v156, v155, 0xba95, v137
	v_add_f16_e32 v151, v154, v151
	v_add_f16_e32 v154, v133, v135
	v_fma_f16 v136, v152, 0x388b, -v150
	v_fmac_f16_e32 v137, 0x3a95, v155
	v_sub_f16_e32 v133, v133, v135
	v_mul_f16_e32 v135, 0xb9fd, v134
	v_add_f16_e32 v138, v157, v138
	v_mul_f16_e32 v157, 0xb94e, v147
	v_add_f16_e32 v2, v136, v2
	v_add_f16_e32 v58, v137, v58
	v_mul_f16_e32 v136, 0x3bf1, v147
	v_fmamk_f16 v137, v133, 0x394e, v135
	v_fmac_f16_e32 v135, 0xb94e, v133
	v_mul_f16_e32 v152, 0x2fb7, v134
	v_fmac_f16_e32 v158, 0x33a8, v155
	v_fmamk_f16 v150, v154, 0xb9fd, v157
	v_fmamk_f16 v155, v154, 0x2fb7, v136
	v_add_f16_e32 v7, v135, v7
	v_fmamk_f16 v135, v133, 0xbbf1, v152
	v_add_f16_e32 v137, v137, v141
	v_add_f16_e32 v3, v150, v3
	v_fma_f16 v150, v154, 0xb9fd, -v157
	v_add_f16_e32 v141, v155, v143
	v_mul_f16_e32 v143, 0xba95, v147
	v_fma_f16 v136, v154, 0x2fb7, -v136
	v_fmac_f16_e32 v152, 0x3bf1, v133
	v_add_f16_e32 v135, v135, v142
	v_mul_f16_e32 v142, 0x388b, v134
	v_add_f16_e32 v6, v150, v6
	v_fmamk_f16 v150, v154, 0x388b, v143
	v_add_f16_e32 v136, v136, v4
	v_add_f16_e32 v152, v152, v5
	v_mul_f16_e32 v4, 0x33a8, v147
	v_fmamk_f16 v5, v133, 0x3a95, v142
	v_add_f16_e32 v145, v150, v145
	v_fmac_f16_e32 v142, 0xba95, v133
	v_fma_f16 v143, v154, 0x388b, -v143
	v_fmamk_f16 v150, v154, 0xbbc4, v4
	v_add_f16_e32 v146, v5, v146
	v_mul_f16_e32 v5, 0xbbc4, v134
	v_add_f16_e32 v11, v142, v11
	v_fma_f16 v4, v154, 0xbbc4, -v4
	v_add_f16_e32 v142, v150, v144
	v_mul_f16_e32 v150, 0x3b15, v134
	v_fmamk_f16 v144, v133, 0xb3a8, v5
	v_fmac_f16_e32 v5, 0x33a8, v133
	v_add_f16_e32 v143, v143, v10
	v_mul_f16_e32 v10, 0x3770, v147
	v_add_f16_e32 v149, v159, v149
	v_add_f16_e32 v144, v144, v148
	;; [unrolled: 1-line block ×4, first 2 shown]
	v_fmamk_f16 v4, v133, 0xb770, v150
	v_mul_f16_e32 v5, 0xbb7b, v147
	v_mul_f16_e32 v8, 0xb5ac, v134
	v_add_f16_e32 v140, v158, v140
	v_add_f16_e32 v153, v156, v153
	v_fmamk_f16 v155, v154, 0x3b15, v10
	v_add_f16_e32 v134, v4, v9
	v_fmac_f16_e32 v150, 0x3770, v133
	v_fmamk_f16 v4, v154, 0xb5ac, v5
	v_fmamk_f16 v9, v133, 0x3b7b, v8
	v_sub_f16_e32 v147, v131, v132
	v_add_f16_e32 v149, v155, v149
	v_fma_f16 v10, v154, 0x3b15, -v10
	v_add_f16_e32 v140, v150, v140
	v_add_f16_e32 v150, v4, v151
	;; [unrolled: 1-line block ×4, first 2 shown]
	v_mul_f16_e32 v9, 0xb3a8, v147
	v_add_f16_e32 v155, v131, v132
	v_fmac_f16_e32 v8, 0xbb7b, v133
	v_add_f16_e32 v139, v10, v139
	v_fma_f16 v4, v154, 0xb5ac, -v5
	v_sub_f16_e32 v154, v129, v130
	v_fmamk_f16 v5, v153, 0xbbc4, v9
	v_mul_f16_e32 v10, 0xbbc4, v155
	v_add_f16_e32 v157, v8, v58
	v_mul_f16_e32 v8, 0x3770, v147
	v_add_f16_e32 v156, v4, v2
	v_add_f16_e32 v4, v5, v3
	v_fmamk_f16 v2, v154, 0x33a8, v10
	v_fma_f16 v3, v153, 0xbbc4, -v9
	v_fmac_f16_e32 v10, 0xb3a8, v154
	v_fmamk_f16 v9, v153, 0x3b15, v8
	v_mul_f16_e32 v58, 0x3b15, v155
	v_add_f16_e32 v5, v2, v137
	v_add_f16_e32 v2, v3, v6
	;; [unrolled: 1-line block ×4, first 2 shown]
	v_mul_f16_e32 v9, 0xb94e, v147
	v_mul_f16_e32 v130, 0xb9fd, v155
	v_fmamk_f16 v6, v154, 0xb770, v58
	v_fma_f16 v8, v153, 0x3b15, -v8
	v_fmac_f16_e32 v58, 0x3770, v154
	v_fmamk_f16 v129, v153, 0xb9fd, v9
	v_fmamk_f16 v131, v154, 0x394e, v130
	v_add_f16_e32 v10, v6, v135
	v_add_f16_e32 v6, v8, v136
	;; [unrolled: 1-line block ×5, first 2 shown]
	v_mul_f16_e32 v131, 0x388b, v155
	v_add_f16_e32 v133, v59, v125
	v_add_f16_sdwa v135, v59, v126 dst_sel:DWORD dst_unused:UNUSED_PAD src0_sel:WORD_1 src1_sel:DWORD
	v_fmac_f16_e32 v130, 0xb94e, v154
	v_mul_f16_e32 v132, 0x3a95, v147
	v_fmamk_f16 v136, v154, 0xba95, v131
	v_add_f16_e32 v141, v133, v113
	v_add_f16_e32 v135, v135, v122
	;; [unrolled: 1-line block ×3, first 2 shown]
	v_fmamk_f16 v130, v153, 0x388b, v132
	v_fma_f16 v137, v153, 0x388b, -v132
	v_add_f16_e32 v133, v136, v144
	v_add_f16_e32 v136, v141, v80
	;; [unrolled: 1-line block ×3, first 2 shown]
	v_fma_f16 v9, v153, 0xb9fd, -v9
	v_add_f16_e32 v132, v130, v142
	v_add_f16_e32 v130, v137, v148
	v_fmac_f16_e32 v131, 0x3a95, v154
	v_mul_f16_e32 v137, 0xbb7b, v147
	v_mul_f16_e32 v141, 0xb5ac, v155
	v_add_f16_e32 v136, v136, v76
	v_add_f16_e32 v135, v135, v77
	;; [unrolled: 1-line block ×4, first 2 shown]
	v_fmamk_f16 v138, v153, 0xb5ac, v137
	v_fmamk_f16 v142, v154, 0x3b7b, v141
	v_fma_f16 v137, v153, 0xb5ac, -v137
	v_add_f16_e32 v143, v136, v72
	v_add_f16_e32 v144, v135, v73
	;; [unrolled: 1-line block ×7, first 2 shown]
	v_fmac_f16_e32 v141, 0xbb7b, v154
	v_mul_f16_e32 v142, 0x2fb7, v155
	v_mul_f16_e32 v139, 0x3bf1, v147
	v_add_f16_e32 v143, v137, v69
	v_add_f16_e32 v138, v138, v71
	;; [unrolled: 1-line block ×3, first 2 shown]
	v_fmamk_f16 v141, v154, 0xbbf1, v142
	v_add_f16_e32 v0, v0, v165
	v_add_f16_e32 v143, v143, v74
	;; [unrolled: 1-line block ×3, first 2 shown]
	v_fmamk_f16 v140, v153, 0x2fb7, v139
	v_fma_f16 v145, v153, 0x2fb7, -v139
	v_add_f16_e32 v139, v141, v151
	v_add_f16_e32 v141, v143, v78
	;; [unrolled: 1-line block ×4, first 2 shown]
	v_sub_f16_e32 v144, v126, v128
	v_add_f16_e32 v138, v140, v150
	v_add_f16_e32 v141, v141, v111
	;; [unrolled: 1-line block ×5, first 2 shown]
	v_fmac_f16_e32 v142, 0x3bf1, v154
	v_add_f16_e32 v145, v125, v127
	v_mul_f16_e32 v146, 0xb770, v144
	v_add_f16_e32 v147, v126, v128
	v_add_f16_e32 v126, v141, v123
	;; [unrolled: 1-line block ×3, first 2 shown]
	v_sub_f16_e32 v165, v122, v124
	v_add_f16_e32 v0, v0, v168
	v_sub_f16_e32 v148, v125, v127
	v_fmamk_f16 v149, v145, 0x3b15, v146
	v_mul_f16_e32 v150, 0x3b15, v147
	v_add_f16_e32 v141, v142, v157
	v_add_f16_e32 v125, v126, v127
	;; [unrolled: 1-line block ×3, first 2 shown]
	v_mul_f16_e32 v142, 0xba95, v144
	v_fma_f16 v143, v145, 0x3b15, -v146
	v_mul_f16_e32 v146, 0x388b, v147
	v_mul_f16_e32 v152, 0xbbf1, v144
	;; [unrolled: 1-line block ×9, first 2 shown]
	v_add_f16_e32 v167, v113, v123
	v_mul_f16_e32 v168, 0xba95, v165
	v_add_f16_e32 v122, v122, v124
	v_add_f16_e32 v127, v59, v149
	v_fmamk_f16 v128, v148, 0x3770, v150
	v_fmac_f16_e32 v150, 0xb770, v148
	v_fmamk_f16 v149, v145, 0x388b, v142
	v_fmamk_f16 v151, v148, 0x3a95, v146
	v_fma_f16 v142, v145, 0x388b, -v142
	v_fmac_f16_e32 v146, 0xba95, v148
	v_fmamk_f16 v153, v145, 0x2fb7, v152
	v_fmamk_f16 v156, v148, 0x3bf1, v154
	v_fma_f16 v152, v145, 0x2fb7, -v152
	;; [unrolled: 4-line block ×5, first 2 shown]
	v_fmac_f16_e32 v147, 0xb3a8, v148
	v_sub_f16_e32 v113, v113, v123
	v_fmamk_f16 v123, v167, 0x388b, v168
	v_mul_f16_e32 v144, 0x388b, v122
	v_add_f16_sdwa v128, v59, v128 dst_sel:DWORD dst_unused:UNUSED_PAD src0_sel:WORD_1 src1_sel:DWORD
	v_add_f16_e32 v143, v59, v143
	v_add_f16_sdwa v150, v59, v150 dst_sel:DWORD dst_unused:UNUSED_PAD src0_sel:WORD_1 src1_sel:DWORD
	v_add_f16_e32 v149, v59, v149
	;; [unrolled: 2-line block ×12, first 2 shown]
	v_fmamk_f16 v127, v113, 0x3a95, v144
	v_mul_f16_e32 v147, 0xbb7b, v165
	v_fma_f16 v148, v167, 0x388b, -v168
	v_fmac_f16_e32 v144, 0xba95, v113
	v_mul_f16_e32 v166, 0xb5ac, v122
	v_add_f16_e32 v127, v127, v128
	v_fmamk_f16 v128, v167, 0xb5ac, v147
	v_add_f16_e32 v143, v148, v143
	v_add_f16_e32 v144, v144, v150
	v_fmamk_f16 v148, v113, 0x3b7b, v166
	v_mul_f16_e32 v150, 0xb3a8, v165
	v_add_f16_e32 v128, v128, v149
	v_fma_f16 v147, v167, 0xb5ac, -v147
	v_fmac_f16_e32 v166, 0xbb7b, v113
	v_add_f16_e32 v148, v148, v151
	v_fmamk_f16 v149, v167, 0xbbc4, v150
	v_mul_f16_e32 v151, 0xbbc4, v122
	v_add_f16_e32 v142, v147, v142
	v_mul_f16_e32 v147, 0x394e, v165
	v_mul_f16_e32 v168, 0xb9fd, v122
	v_add_f16_e32 v149, v149, v153
	v_fmamk_f16 v153, v113, 0x33a8, v151
	v_fmac_f16_e32 v151, 0xb3a8, v113
	v_add_f16_e32 v146, v166, v146
	v_fma_f16 v150, v167, 0xbbc4, -v150
	v_fmamk_f16 v166, v167, 0xb9fd, v147
	v_add_f16_e32 v153, v153, v156
	v_add_f16_e32 v151, v151, v154
	v_fmamk_f16 v154, v113, 0xb94e, v168
	v_mul_f16_e32 v156, 0x3bf1, v165
	v_add_f16_e32 v150, v150, v152
	v_add_f16_e32 v152, v166, v157
	v_fma_f16 v147, v167, 0xb9fd, -v147
	v_mul_f16_e32 v157, 0x2fb7, v122
	v_add_f16_e32 v154, v154, v159
	v_fmamk_f16 v159, v167, 0x2fb7, v156
	v_mul_f16_e32 v165, 0x3770, v165
	v_fma_f16 v156, v167, 0x2fb7, -v156
	v_add_f16_e32 v147, v147, v155
	v_fmamk_f16 v155, v113, 0xbbf1, v157
	v_add_f16_e32 v159, v159, v162
	v_fmac_f16_e32 v157, 0x3bf1, v113
	v_fmamk_f16 v162, v167, 0x3b15, v165
	v_add_f16_e32 v156, v156, v160
	v_sub_f16_e32 v160, v81, v112
	v_add_f16_e32 v155, v155, v163
	v_mul_f16_e32 v122, 0x3b15, v122
	v_add_f16_e32 v157, v157, v161
	v_add_f16_e32 v161, v162, v164
	;; [unrolled: 1-line block ×3, first 2 shown]
	v_mul_f16_e32 v164, 0xbbf1, v160
	v_add_f16_e32 v81, v81, v112
	v_fmac_f16_e32 v168, 0x394e, v113
	v_fmamk_f16 v162, v113, 0xb770, v122
	v_fma_f16 v112, v167, 0x3b15, -v165
	v_fmac_f16_e32 v122, 0x3770, v113
	v_sub_f16_e32 v80, v80, v111
	v_fmamk_f16 v111, v163, 0x2fb7, v164
	v_mul_f16_e32 v113, 0x2fb7, v81
	v_add_f16_e32 v145, v162, v145
	v_add_f16_e32 v112, v112, v124
	;; [unrolled: 1-line block ×4, first 2 shown]
	v_fmamk_f16 v122, v80, 0x3bf1, v113
	v_mul_f16_e32 v123, 0xb3a8, v160
	v_fma_f16 v124, v163, 0x2fb7, -v164
	v_fmac_f16_e32 v113, 0xbbf1, v80
	v_mul_f16_e32 v162, 0xbbc4, v81
	v_add_f16_e32 v122, v122, v127
	v_fmamk_f16 v127, v163, 0xbbc4, v123
	v_add_f16_e32 v124, v124, v143
	v_add_f16_e32 v113, v113, v144
	v_fmamk_f16 v143, v80, 0x33a8, v162
	v_mul_f16_e32 v144, 0x3b7b, v160
	v_fma_f16 v123, v163, 0xbbc4, -v123
	v_fmac_f16_e32 v162, 0xb3a8, v80
	v_add_f16_e32 v127, v127, v128
	v_add_f16_e32 v128, v143, v148
	v_fmamk_f16 v143, v163, 0xb5ac, v144
	v_mul_f16_e32 v148, 0xb5ac, v81
	v_add_f16_e32 v123, v123, v142
	v_add_f16_e32 v142, v162, v146
	v_mul_f16_e32 v146, 0x3770, v160
	v_add_f16_e32 v143, v143, v149
	v_fmamk_f16 v149, v80, 0xbb7b, v148
	v_fma_f16 v144, v163, 0xb5ac, -v144
	v_fmac_f16_e32 v148, 0x3b7b, v80
	v_fmamk_f16 v162, v163, 0x3b15, v146
	v_mul_f16_e32 v164, 0x3b15, v81
	v_add_f16_e32 v149, v149, v153
	v_add_f16_e32 v144, v144, v150
	;; [unrolled: 1-line block ×4, first 2 shown]
	v_fmamk_f16 v151, v80, 0xb770, v164
	v_mul_f16_e32 v152, 0xba95, v160
	v_fma_f16 v146, v163, 0x3b15, -v146
	v_mul_f16_e32 v153, 0x388b, v81
	v_mul_f16_e32 v160, 0xb94e, v160
	v_add_f16_e32 v151, v151, v154
	v_fmamk_f16 v154, v163, 0x388b, v152
	v_add_f16_e32 v146, v146, v147
	v_fmamk_f16 v147, v80, 0x3a95, v153
	v_fma_f16 v152, v163, 0x388b, -v152
	v_fmac_f16_e32 v153, 0xba95, v80
	v_add_f16_e32 v154, v154, v159
	v_mul_f16_e32 v81, 0xb9fd, v81
	v_add_f16_e32 v147, v147, v155
	v_fmamk_f16 v155, v163, 0xb9fd, v160
	v_add_f16_e32 v152, v152, v156
	v_sub_f16_e32 v156, v77, v79
	v_add_f16_e32 v159, v76, v78
	v_add_f16_e32 v77, v77, v79
	;; [unrolled: 1-line block ×3, first 2 shown]
	v_fmac_f16_e32 v164, 0x3770, v80
	v_mul_f16_e32 v161, 0xbb7b, v156
	v_add_f16_e32 v153, v153, v157
	v_fmamk_f16 v157, v80, 0x394e, v81
	v_fma_f16 v79, v163, 0xb9fd, -v160
	v_fmac_f16_e32 v81, 0xb94e, v80
	v_sub_f16_e32 v76, v76, v78
	v_fmamk_f16 v78, v159, 0xb5ac, v161
	v_mul_f16_e32 v80, 0xb5ac, v77
	v_add_f16_e32 v145, v157, v145
	v_add_f16_e32 v79, v79, v112
	;; [unrolled: 1-line block ×4, first 2 shown]
	v_fmamk_f16 v81, v76, 0x3b7b, v80
	v_mul_f16_e32 v111, 0x394e, v156
	v_fma_f16 v112, v159, 0xb5ac, -v161
	v_fmac_f16_e32 v80, 0xbb7b, v76
	v_mul_f16_e32 v157, 0xb9fd, v77
	v_add_f16_e32 v81, v81, v122
	v_fmamk_f16 v122, v159, 0xb9fd, v111
	v_add_f16_e32 v112, v112, v124
	v_add_f16_e32 v80, v80, v113
	v_fmamk_f16 v113, v76, 0xb94e, v157
	v_mul_f16_e32 v124, 0x3770, v156
	v_fma_f16 v111, v159, 0xb9fd, -v111
	v_fmac_f16_e32 v157, 0x394e, v76
	v_add_f16_e32 v122, v122, v127
	v_add_f16_e32 v113, v113, v128
	v_fmamk_f16 v127, v159, 0x3b15, v124
	v_mul_f16_e32 v128, 0x3b15, v77
	v_add_f16_e32 v111, v111, v123
	v_add_f16_e32 v123, v157, v142
	v_mul_f16_e32 v142, 0xbbf1, v156
	v_add_f16_e32 v127, v127, v143
	v_fmamk_f16 v143, v76, 0xb770, v128
	v_fma_f16 v124, v159, 0x3b15, -v124
	v_fmac_f16_e32 v128, 0x3770, v76
	v_fmamk_f16 v157, v159, 0x2fb7, v142
	v_mul_f16_e32 v160, 0x2fb7, v77
	v_add_f16_e32 v143, v143, v149
	v_add_f16_e32 v124, v124, v144
	;; [unrolled: 1-line block ×4, first 2 shown]
	v_fmamk_f16 v148, v76, 0x3bf1, v160
	v_mul_f16_e32 v149, 0x33a8, v156
	v_fma_f16 v142, v159, 0x2fb7, -v142
	v_mul_f16_e32 v150, 0xbbc4, v77
	v_mul_f16_e32 v156, 0x3a95, v156
	v_add_f16_e32 v148, v148, v151
	v_fmamk_f16 v151, v159, 0xbbc4, v149
	v_add_f16_e32 v142, v142, v146
	v_fmamk_f16 v146, v76, 0xb3a8, v150
	v_fma_f16 v149, v159, 0xbbc4, -v149
	v_fmac_f16_e32 v150, 0x33a8, v76
	v_add_f16_e32 v151, v151, v154
	v_mul_f16_e32 v77, 0x388b, v77
	v_add_f16_e32 v146, v146, v147
	v_fmamk_f16 v147, v159, 0x388b, v156
	v_add_f16_e32 v149, v149, v152
	v_sub_f16_e32 v152, v73, v75
	v_add_f16_e32 v154, v72, v74
	v_add_f16_e32 v73, v73, v75
	;; [unrolled: 1-line block ×3, first 2 shown]
	v_fmac_f16_e32 v160, 0xbbf1, v76
	v_mul_f16_e32 v155, 0xb94e, v152
	v_add_f16_e32 v150, v150, v153
	v_fmamk_f16 v153, v76, 0xba95, v77
	v_fma_f16 v75, v159, 0x388b, -v156
	v_fmac_f16_e32 v77, 0x3a95, v76
	v_sub_f16_e32 v72, v72, v74
	v_fmamk_f16 v74, v154, 0xb9fd, v155
	v_mul_f16_e32 v76, 0xb9fd, v73
	v_add_f16_e32 v145, v153, v145
	v_add_f16_e32 v75, v75, v79
	;; [unrolled: 1-line block ×4, first 2 shown]
	v_fmamk_f16 v77, v72, 0x394e, v76
	v_mul_f16_e32 v78, 0x3bf1, v152
	v_fma_f16 v79, v154, 0xb9fd, -v155
	v_fmac_f16_e32 v76, 0xb94e, v72
	v_mul_f16_e32 v153, 0x2fb7, v73
	v_add_f16_e32 v77, v77, v81
	v_fmamk_f16 v81, v154, 0x2fb7, v78
	v_add_f16_e32 v79, v79, v112
	v_add_f16_e32 v76, v76, v80
	v_fmamk_f16 v80, v72, 0xbbf1, v153
	v_mul_f16_e32 v112, 0xba95, v152
	v_add_f16_e32 v81, v81, v122
	v_fma_f16 v78, v154, 0x2fb7, -v78
	v_fmac_f16_e32 v153, 0x3bf1, v72
	v_add_f16_e32 v80, v80, v113
	v_fmamk_f16 v113, v154, 0x388b, v112
	v_mul_f16_e32 v122, 0x388b, v73
	v_add_f16_e32 v78, v78, v111
	v_add_f16_e32 v111, v153, v123
	v_mul_f16_e32 v123, 0x33a8, v152
	v_add_f16_e32 v113, v113, v127
	v_fmamk_f16 v127, v72, 0x3a95, v122
	v_fmac_f16_e32 v122, 0xba95, v72
	v_mul_f16_e32 v155, 0xbbc4, v73
	v_fma_f16 v112, v154, 0x388b, -v112
	v_fmamk_f16 v153, v154, 0xbbc4, v123
	v_add_f16_e32 v127, v127, v143
	v_add_f16_e32 v122, v122, v128
	v_fmamk_f16 v128, v72, 0xb3a8, v155
	v_mul_f16_e32 v143, 0x3770, v152
	v_add_f16_e32 v112, v112, v124
	v_add_f16_e32 v124, v153, v144
	v_fma_f16 v123, v154, 0xbbc4, -v123
	v_mul_f16_e32 v144, 0x3b15, v73
	v_add_f16_e32 v128, v128, v148
	v_fmamk_f16 v148, v154, 0x3b15, v143
	v_fma_f16 v143, v154, 0x3b15, -v143
	v_add_f16_e32 v123, v123, v142
	v_fmamk_f16 v142, v72, 0xb770, v144
	v_mul_f16_e32 v152, 0xbb7b, v152
	v_fmac_f16_e32 v144, 0x3770, v72
	v_add_f16_e32 v143, v143, v149
	v_sub_f16_e32 v149, v70, v71
	v_add_f16_e32 v148, v148, v151
	v_add_f16_e32 v142, v142, v146
	v_fmamk_f16 v146, v154, 0xb5ac, v152
	v_mul_f16_e32 v73, 0xb5ac, v73
	v_add_f16_e32 v144, v144, v150
	v_add_f16_e32 v150, v68, v69
	v_mul_f16_e32 v151, 0xb3a8, v149
	v_add_f16_e32 v70, v70, v71
	v_fmac_f16_e32 v155, 0x33a8, v72
	v_add_f16_e32 v146, v146, v147
	v_fmamk_f16 v147, v72, 0x3b7b, v73
	v_fma_f16 v71, v154, 0xb5ac, -v152
	v_fmac_f16_e32 v73, 0xbb7b, v72
	v_sub_f16_e32 v68, v68, v69
	v_fmamk_f16 v69, v150, 0xbbc4, v151
	v_mul_f16_e32 v72, 0xbbc4, v70
	v_add_f16_e32 v145, v147, v145
	v_add_f16_e32 v71, v71, v75
	v_add_f16_e32 v59, v73, v59
	v_add_f16_e32 v69, v69, v74
	v_fmamk_f16 v73, v68, 0x33a8, v72
	v_mul_f16_e32 v74, 0x3770, v149
	v_fma_f16 v75, v150, 0xbbc4, -v151
	v_fmac_f16_e32 v72, 0xb3a8, v68
	v_mul_f16_e32 v147, 0x3b15, v70
	v_add_f16_e32 v73, v73, v77
	v_fmamk_f16 v77, v150, 0x3b15, v74
	v_add_f16_e32 v75, v75, v79
	v_add_f16_e32 v72, v72, v76
	v_fmamk_f16 v76, v68, 0xb770, v147
	v_mul_f16_e32 v79, 0xb94e, v149
	v_fma_f16 v74, v150, 0x3b15, -v74
	v_fmac_f16_e32 v147, 0x3770, v68
	v_add_f16_e32 v77, v77, v81
	v_add_f16_e32 v76, v76, v80
	v_fmamk_f16 v80, v150, 0xb9fd, v79
	v_mul_f16_e32 v81, 0xb9fd, v70
	v_add_f16_e32 v74, v74, v78
	v_add_f16_e32 v78, v147, v111
	v_mul_f16_e32 v111, 0x3a95, v149
	v_add_f16_e32 v1, v1, v189
	v_add_f16_e32 v80, v80, v113
	v_fmamk_f16 v113, v68, 0x394e, v81
	v_fma_f16 v79, v150, 0xb9fd, -v79
	v_fmac_f16_e32 v81, 0xb94e, v68
	v_fmamk_f16 v147, v150, 0x388b, v111
	v_mul_f16_e32 v151, 0x388b, v70
	v_add_f16_e32 v1, v1, v190
	v_add_f16_e32 v79, v79, v112
	;; [unrolled: 1-line block ×4, first 2 shown]
	v_fmamk_f16 v122, v68, 0xba95, v151
	v_mul_f16_e32 v124, 0xbb7b, v149
	v_add_f16_e32 v158, v168, v158
	v_add_f16_e32 v113, v113, v127
	v_mul_f16_e32 v127, 0xb5ac, v70
	v_add_f16_e32 v1, v1, v191
	v_add_f16_e32 v122, v122, v128
	v_fmamk_f16 v128, v150, 0xb5ac, v124
	v_add_f16_e32 v158, v164, v158
	v_fmamk_f16 v147, v68, 0x3b7b, v127
	v_mul_f16_e32 v70, 0x2fb7, v70
	v_add_f16_e32 v1, v1, v192
	v_fma_f16 v124, v150, 0xb5ac, -v124
	v_add_f16_e32 v128, v128, v148
	v_mul_f16_e32 v148, 0x3bf1, v149
	v_add_f16_e32 v157, v160, v158
	v_add_f16_e32 v142, v147, v142
	v_fmamk_f16 v147, v68, 0xbbf1, v70
	v_fmac_f16_e32 v70, 0x3bf1, v68
	v_pack_b32_f16 v0, v1, v0
	v_pack_b32_f16 v1, v4, v5
	v_add_f16_e32 v124, v124, v143
	v_fmac_f16_e32 v127, 0xbb7b, v68
	v_fmamk_f16 v143, v150, 0x2fb7, v148
	v_fma_f16 v148, v150, 0x2fb7, -v148
	v_pack_b32_f16 v4, v7, v10
	v_pack_b32_f16 v5, v58, v129
	v_add_f16_e32 v153, v155, v157
	v_fma_f16 v111, v150, 0x388b, -v111
	v_fmac_f16_e32 v151, 0x3a95, v68
	v_pack_b32_f16 v7, v132, v133
	v_pack_b32_f16 v10, v135, v136
	v_add_f16_e32 v59, v70, v59
	v_pack_b32_f16 v58, v138, v139
	v_pack_b32_f16 v70, v140, v141
	ds_write2_b32 v115, v0, v1 offset1:2
	ds_write2_b32 v115, v4, v5 offset0:4 offset1:6
	ds_write2_b32 v115, v7, v10 offset0:8 offset1:10
	;; [unrolled: 1-line block ×3, first 2 shown]
	v_pack_b32_f16 v0, v134, v137
	v_pack_b32_f16 v1, v130, v131
	v_add_f16_e32 v68, v127, v144
	v_add_f16_e32 v127, v143, v146
	;; [unrolled: 1-line block ×4, first 2 shown]
	v_pack_b32_f16 v4, v9, v11
	v_pack_b32_f16 v5, v6, v8
	v_add_f16_e32 v111, v111, v123
	v_add_f16_e32 v123, v151, v153
	v_pack_b32_f16 v2, v2, v3
	v_pack_b32_f16 v3, v125, v126
	;; [unrolled: 1-line block ×5, first 2 shown]
	ds_write2_b32 v115, v0, v1 offset0:16 offset1:18
	ds_write2_b32 v115, v4, v5 offset0:20 offset1:22
	ds_write_b32 v115, v2 offset:96
	ds_write2_b32 v116, v3, v6 offset1:2
	ds_write2_b32 v116, v7, v8 offset0:4 offset1:6
	v_pack_b32_f16 v0, v112, v122
	v_pack_b32_f16 v1, v128, v142
	;; [unrolled: 1-line block ×9, first 2 shown]
	ds_write2_b32 v116, v0, v1 offset0:8 offset1:10
	ds_write2_b32 v116, v2, v3 offset0:12 offset1:14
	ds_write2_b32 v116, v4, v5 offset0:16 offset1:18
	ds_write2_b32 v116, v6, v7 offset0:20 offset1:22
	ds_write_b32 v116, v8 offset:96
	s_waitcnt lgkmcnt(0)
	s_barrier
	buffer_gl0_inv
	ds_read2_b32 v[2:3], v82 offset0:104 offset1:156
	ds_read2_b32 v[4:5], v121 offset0:80 offset1:132
	;; [unrolled: 1-line block ×12, first 2 shown]
	ds_read2_b32 v[0:1], v82 offset1:52
	s_waitcnt lgkmcnt(0)
	s_barrier
	buffer_gl0_inv
	v_lshrrev_b32_e32 v58, 16, v2
	v_lshrrev_b32_e32 v59, 16, v4
	;; [unrolled: 1-line block ×3, first 2 shown]
	v_mul_f16_sdwa v69, v24, v2 dst_sel:DWORD dst_unused:UNUSED_PAD src0_sel:WORD_1 src1_sel:DWORD
	v_lshrrev_b32_e32 v68, 16, v10
	v_mul_f16_sdwa v138, v24, v58 dst_sel:DWORD dst_unused:UNUSED_PAD src0_sel:WORD_1 src1_sel:DWORD
	v_mul_f16_sdwa v140, v25, v59 dst_sel:DWORD dst_unused:UNUSED_PAD src0_sel:WORD_1 src1_sel:DWORD
	;; [unrolled: 1-line block ×3, first 2 shown]
	v_lshrrev_b32_e32 v113, 16, v73
	v_lshrrev_b32_e32 v67, 16, v8
	v_fmac_f16_e32 v138, v24, v2
	v_fmac_f16_e32 v140, v25, v4
	v_mul_f16_sdwa v4, v26, v6 dst_sel:DWORD dst_unused:UNUSED_PAD src0_sel:WORD_1 src1_sel:DWORD
	v_fma_f16 v2, v24, v58, -v69
	v_mul_f16_sdwa v58, v28, v68 dst_sel:DWORD dst_unused:UNUSED_PAD src0_sel:WORD_1 src1_sel:DWORD
	v_lshrrev_b32_e32 v122, 16, v75
	v_mul_f16_sdwa v141, v26, v66 dst_sel:DWORD dst_unused:UNUSED_PAD src0_sel:WORD_1 src1_sel:DWORD
	v_fma_f16 v143, v26, v66, -v4
	v_mul_f16_sdwa v4, v28, v10 dst_sel:DWORD dst_unused:UNUSED_PAD src0_sel:WORD_1 src1_sel:DWORD
	v_fmac_f16_e32 v58, v28, v10
	v_lshrrev_b32_e32 v81, 16, v71
	v_lshrrev_b32_e32 v124, 16, v79
	v_mul_f16_sdwa v69, v27, v67 dst_sel:DWORD dst_unused:UNUSED_PAD src0_sel:WORD_1 src1_sel:DWORD
	v_fma_f16 v66, v28, v68, -v4
	v_mul_f16_sdwa v28, v30, v113 dst_sel:DWORD dst_unused:UNUSED_PAD src0_sel:WORD_1 src1_sel:DWORD
	v_mul_f16_sdwa v4, v30, v73 dst_sel:DWORD dst_unused:UNUSED_PAD src0_sel:WORD_1 src1_sel:DWORD
	v_fmac_f16_e32 v141, v26, v6
	v_mul_f16_sdwa v6, v27, v8 dst_sel:DWORD dst_unused:UNUSED_PAD src0_sel:WORD_1 src1_sel:DWORD
	v_mul_f16_sdwa v68, v31, v122 dst_sel:DWORD dst_unused:UNUSED_PAD src0_sel:WORD_1 src1_sel:DWORD
	v_fmac_f16_e32 v28, v30, v73
	v_fma_f16 v30, v30, v113, -v4
	v_mul_f16_sdwa v4, v31, v75 dst_sel:DWORD dst_unused:UNUSED_PAD src0_sel:WORD_1 src1_sel:DWORD
	v_lshrrev_b32_e32 v123, 16, v77
	v_lshrrev_b32_e32 v127, 16, v3
	v_fma_f16 v142, v25, v59, -v70
	v_fmac_f16_e32 v69, v27, v8
	v_fma_f16 v70, v27, v67, -v6
	v_mul_f16_sdwa v27, v29, v81 dst_sel:DWORD dst_unused:UNUSED_PAD src0_sel:WORD_1 src1_sel:DWORD
	v_mul_f16_sdwa v6, v29, v71 dst_sel:DWORD dst_unused:UNUSED_PAD src0_sel:WORD_1 src1_sel:DWORD
	v_fmac_f16_e32 v68, v31, v75
	v_mul_f16_sdwa v73, v21, v124 dst_sel:DWORD dst_unused:UNUSED_PAD src0_sel:WORD_1 src1_sel:DWORD
	v_fma_f16 v31, v31, v122, -v4
	v_mul_f16_sdwa v4, v21, v79 dst_sel:DWORD dst_unused:UNUSED_PAD src0_sel:WORD_1 src1_sel:DWORD
	v_lshrrev_b32_e32 v125, 16, v111
	v_lshrrev_b32_e32 v126, 16, v115
	v_fmac_f16_e32 v27, v29, v71
	v_fma_f16 v29, v29, v81, -v6
	v_mul_f16_sdwa v71, v20, v123 dst_sel:DWORD dst_unused:UNUSED_PAD src0_sel:WORD_1 src1_sel:DWORD
	v_mul_f16_sdwa v6, v20, v77 dst_sel:DWORD dst_unused:UNUSED_PAD src0_sel:WORD_1 src1_sel:DWORD
	v_fmac_f16_e32 v73, v21, v79
	v_fma_f16 v79, v21, v124, -v4
	v_mul_f16_sdwa v4, v23, v115 dst_sel:DWORD dst_unused:UNUSED_PAD src0_sel:WORD_1 src1_sel:DWORD
	v_mul_f16_sdwa v25, v16, v127 dst_sel:DWORD dst_unused:UNUSED_PAD src0_sel:WORD_1 src1_sel:DWORD
	v_lshrrev_b32_e32 v128, 16, v5
	v_fmac_f16_e32 v71, v20, v77
	v_fma_f16 v75, v20, v123, -v6
	v_mul_f16_sdwa v77, v22, v125 dst_sel:DWORD dst_unused:UNUSED_PAD src0_sel:WORD_1 src1_sel:DWORD
	v_mul_f16_sdwa v6, v22, v111 dst_sel:DWORD dst_unused:UNUSED_PAD src0_sel:WORD_1 src1_sel:DWORD
	;; [unrolled: 1-line block ×3, first 2 shown]
	v_fma_f16 v113, v23, v126, -v4
	v_mul_f16_sdwa v4, v16, v3 dst_sel:DWORD dst_unused:UNUSED_PAD src0_sel:WORD_1 src1_sel:DWORD
	v_fmac_f16_e32 v25, v16, v3
	v_mul_f16_sdwa v3, v17, v5 dst_sel:DWORD dst_unused:UNUSED_PAD src0_sel:WORD_1 src1_sel:DWORD
	v_lshrrev_b32_e32 v130, 16, v9
	v_fmac_f16_e32 v77, v22, v111
	v_fma_f16 v111, v22, v125, -v6
	v_fmac_f16_e32 v81, v23, v115
	v_mul_f16_sdwa v22, v17, v128 dst_sel:DWORD dst_unused:UNUSED_PAD src0_sel:WORD_1 src1_sel:DWORD
	v_fma_f16 v23, v17, v128, -v3
	v_mul_f16_sdwa v3, v19, v9 dst_sel:DWORD dst_unused:UNUSED_PAD src0_sel:WORD_1 src1_sel:DWORD
	v_lshrrev_b32_e32 v129, 16, v7
	v_add_f16_sdwa v6, v0, v2 dst_sel:DWORD dst_unused:UNUSED_PAD src0_sel:WORD_1 src1_sel:DWORD
	v_fmac_f16_e32 v22, v17, v5
	v_fma_f16 v26, v16, v127, -v4
	v_fma_f16 v17, v19, v130, -v3
	v_add_f16_e32 v3, v0, v138
	v_mul_f16_sdwa v20, v18, v129 dst_sel:DWORD dst_unused:UNUSED_PAD src0_sel:WORD_1 src1_sel:DWORD
	v_mul_f16_sdwa v4, v18, v7 dst_sel:DWORD dst_unused:UNUSED_PAD src0_sel:WORD_1 src1_sel:DWORD
	v_add_f16_e32 v10, v6, v142
	v_mul_f16_sdwa v16, v19, v130 dst_sel:DWORD dst_unused:UNUSED_PAD src0_sel:WORD_1 src1_sel:DWORD
	v_add_f16_e32 v3, v3, v140
	v_fmac_f16_e32 v20, v18, v7
	v_fma_f16 v21, v18, v129, -v4
	v_add_f16_e32 v18, v10, v143
	v_lshrrev_b32_e32 v131, 16, v11
	v_add_f16_e32 v3, v3, v141
	v_fmac_f16_e32 v16, v19, v9
	v_lshrrev_b32_e32 v135, 16, v78
	v_add_f16_e32 v19, v18, v70
	v_mul_f16_sdwa v8, v32, v131 dst_sel:DWORD dst_unused:UNUSED_PAD src0_sel:WORD_1 src1_sel:DWORD
	v_add_f16_e32 v3, v3, v69
	v_mul_f16_sdwa v5, v32, v11 dst_sel:DWORD dst_unused:UNUSED_PAD src0_sel:WORD_1 src1_sel:DWORD
	v_lshrrev_b32_e32 v132, 16, v72
	v_add_f16_e32 v24, v19, v66
	v_fmac_f16_e32 v8, v32, v11
	v_add_f16_e32 v3, v3, v58
	v_fma_f16 v9, v32, v131, -v5
	v_mul_f16_sdwa v18, v12, v135 dst_sel:DWORD dst_unused:UNUSED_PAD src0_sel:WORD_1 src1_sel:DWORD
	v_mul_f16_sdwa v32, v12, v78 dst_sel:DWORD dst_unused:UNUSED_PAD src0_sel:WORD_1 src1_sel:DWORD
	v_add_f16_e32 v24, v24, v29
	v_add_f16_e32 v3, v3, v27
	v_lshrrev_b32_e32 v136, 16, v80
	v_mul_f16_sdwa v4, v33, v132 dst_sel:DWORD dst_unused:UNUSED_PAD src0_sel:WORD_1 src1_sel:DWORD
	v_mul_f16_sdwa v7, v33, v72 dst_sel:DWORD dst_unused:UNUSED_PAD src0_sel:WORD_1 src1_sel:DWORD
	v_fmac_f16_e32 v18, v12, v78
	v_fma_f16 v12, v12, v135, -v32
	v_add_f16_e32 v3, v3, v28
	v_add_f16_e32 v32, v24, v30
	v_lshrrev_b32_e32 v133, 16, v74
	v_lshrrev_b32_e32 v137, 16, v112
	v_fmac_f16_e32 v4, v33, v72
	v_fma_f16 v6, v33, v132, -v7
	v_mul_f16_sdwa v19, v13, v136 dst_sel:DWORD dst_unused:UNUSED_PAD src0_sel:WORD_1 src1_sel:DWORD
	v_mul_f16_sdwa v33, v13, v80 dst_sel:DWORD dst_unused:UNUSED_PAD src0_sel:WORD_1 src1_sel:DWORD
	v_add_f16_e32 v3, v3, v68
	v_add_f16_e32 v32, v32, v31
	v_lshrrev_b32_e32 v134, 16, v76
	v_lshrrev_b32_e32 v139, 16, v116
	v_mul_f16_sdwa v5, v34, v133 dst_sel:DWORD dst_unused:UNUSED_PAD src0_sel:WORD_1 src1_sel:DWORD
	v_mul_f16_sdwa v11, v34, v74 dst_sel:DWORD dst_unused:UNUSED_PAD src0_sel:WORD_1 src1_sel:DWORD
	v_fmac_f16_e32 v19, v13, v80
	v_fma_f16 v13, v13, v136, -v33
	v_mul_f16_sdwa v24, v14, v137 dst_sel:DWORD dst_unused:UNUSED_PAD src0_sel:WORD_1 src1_sel:DWORD
	v_mul_f16_sdwa v33, v14, v112 dst_sel:DWORD dst_unused:UNUSED_PAD src0_sel:WORD_1 src1_sel:DWORD
	v_add_f16_e32 v3, v3, v71
	v_add_f16_e32 v32, v32, v75
	v_fmac_f16_e32 v5, v34, v74
	v_fma_f16 v7, v34, v133, -v11
	v_mul_f16_sdwa v10, v35, v134 dst_sel:DWORD dst_unused:UNUSED_PAD src0_sel:WORD_1 src1_sel:DWORD
	v_mul_f16_sdwa v11, v35, v76 dst_sel:DWORD dst_unused:UNUSED_PAD src0_sel:WORD_1 src1_sel:DWORD
	;; [unrolled: 1-line block ×3, first 2 shown]
	v_fmac_f16_e32 v24, v14, v112
	v_fma_f16 v14, v14, v137, -v33
	v_sub_f16_e32 v33, v2, v113
	v_mul_f16_sdwa v34, v15, v116 dst_sel:DWORD dst_unused:UNUSED_PAD src0_sel:WORD_1 src1_sel:DWORD
	v_add_f16_e32 v3, v3, v73
	v_add_f16_e32 v32, v32, v79
	v_fmac_f16_e32 v10, v35, v76
	v_fma_f16 v11, v35, v134, -v11
	v_fmac_f16_e32 v59, v15, v116
	v_add_f16_e32 v35, v138, v81
	v_mul_f16_e32 v72, 0xb770, v33
	v_fma_f16 v67, v15, v139, -v34
	v_add_f16_e32 v15, v2, v113
	v_add_f16_e32 v2, v3, v77
	;; [unrolled: 1-line block ×3, first 2 shown]
	v_sub_f16_e32 v132, v142, v111
	v_fmamk_f16 v32, v35, 0x3b15, v72
	v_sub_f16_e32 v34, v138, v81
	v_mul_f16_e32 v74, 0x3b15, v15
	v_add_f16_e32 v3, v3, v113
	v_mul_f16_e32 v76, 0xba95, v33
	v_mul_f16_e32 v80, 0x388b, v15
	;; [unrolled: 1-line block ×10, first 2 shown]
	v_add_f16_e32 v134, v140, v77
	v_mul_f16_e32 v135, 0xba95, v132
	v_add_f16_e32 v111, v142, v111
	v_add_f16_e32 v2, v2, v81
	;; [unrolled: 1-line block ×3, first 2 shown]
	v_fmamk_f16 v78, v34, 0x3770, v74
	v_fma_f16 v72, v35, 0x3b15, -v72
	v_fmac_f16_e32 v74, 0xb770, v34
	v_fmamk_f16 v81, v35, 0x388b, v76
	v_fmamk_f16 v112, v34, 0x3a95, v80
	v_fma_f16 v76, v35, 0x388b, -v76
	v_fmac_f16_e32 v80, 0xba95, v34
	v_fmamk_f16 v116, v35, 0x2fb7, v113
	;; [unrolled: 4-line block ×6, first 2 shown]
	v_sub_f16_e32 v35, v140, v77
	v_mul_f16_e32 v77, 0x388b, v111
	v_add_f16_sdwa v78, v0, v78 dst_sel:DWORD dst_unused:UNUSED_PAD src0_sel:WORD_1 src1_sel:DWORD
	v_add_f16_e32 v72, v0, v72
	v_add_f16_sdwa v74, v0, v74 dst_sel:DWORD dst_unused:UNUSED_PAD src0_sel:WORD_1 src1_sel:DWORD
	v_add_f16_e32 v81, v0, v81
	;; [unrolled: 2-line block ×12, first 2 shown]
	v_mul_f16_e32 v32, 0xbb7b, v132
	v_fmamk_f16 v34, v35, 0x3a95, v77
	v_fmac_f16_e32 v77, 0xba95, v35
	v_mul_f16_e32 v136, 0xb5ac, v111
	v_fma_f16 v135, v134, 0x388b, -v135
	v_fmamk_f16 v137, v134, 0xb5ac, v32
	v_add_f16_e32 v34, v34, v78
	v_add_f16_e32 v74, v77, v74
	v_fmamk_f16 v77, v35, 0x3b7b, v136
	v_fma_f16 v32, v134, 0xb5ac, -v32
	v_add_f16_e32 v78, v137, v81
	v_mul_f16_e32 v81, 0xb3a8, v132
	v_fmac_f16_e32 v136, 0xbb7b, v35
	v_add_f16_e32 v77, v77, v112
	v_mul_f16_e32 v112, 0xbbc4, v111
	v_add_f16_e32 v72, v135, v72
	v_fmamk_f16 v135, v134, 0xbbc4, v81
	v_add_f16_e32 v32, v32, v76
	v_add_f16_e32 v76, v136, v80
	v_mul_f16_e32 v80, 0x394e, v132
	v_fmamk_f16 v136, v35, 0x33a8, v112
	v_fmac_f16_e32 v112, 0xb3a8, v35
	v_add_f16_e32 v116, v135, v116
	v_fma_f16 v81, v134, 0xbbc4, -v81
	v_fmamk_f16 v135, v134, 0xb9fd, v80
	v_add_f16_e32 v123, v136, v123
	v_mul_f16_e32 v136, 0xb9fd, v111
	v_add_f16_e32 v112, v112, v115
	v_mul_f16_e32 v115, 0x3bf1, v132
	v_add_f16_e32 v81, v81, v113
	v_add_f16_e32 v113, v135, v124
	v_fmamk_f16 v124, v35, 0xb94e, v136
	v_fma_f16 v80, v134, 0xb9fd, -v80
	v_mul_f16_e32 v135, 0x2fb7, v111
	v_fmamk_f16 v137, v134, 0x2fb7, v115
	v_fma_f16 v115, v134, 0x2fb7, -v115
	v_add_f16_e32 v124, v124, v127
	v_add_f16_e32 v80, v80, v122
	v_fmamk_f16 v122, v35, 0xbbf1, v135
	v_add_f16_e32 v127, v137, v129
	v_mul_f16_e32 v129, 0x3770, v132
	v_mul_f16_e32 v111, 0x3b15, v111
	v_fmac_f16_e32 v135, 0x3bf1, v35
	v_add_f16_e32 v122, v122, v130
	v_add_f16_e32 v115, v115, v126
	v_fmamk_f16 v130, v134, 0x3b15, v129
	v_sub_f16_e32 v126, v143, v79
	v_fmamk_f16 v132, v35, 0xb770, v111
	v_add_f16_e32 v128, v135, v128
	v_add_f16_e32 v79, v143, v79
	;; [unrolled: 1-line block ×4, first 2 shown]
	v_mul_f16_e32 v135, 0xbbf1, v126
	v_fmac_f16_e32 v136, 0x394e, v35
	v_add_f16_e32 v132, v132, v133
	v_fma_f16 v129, v134, 0x3b15, -v129
	v_fmac_f16_e32 v111, 0x3770, v35
	v_fmamk_f16 v35, v131, 0x2fb7, v135
	v_sub_f16_e32 v73, v141, v73
	v_mul_f16_e32 v133, 0x2fb7, v79
	v_add_f16_e32 v33, v129, v33
	v_add_f16_e32 v0, v111, v0
	;; [unrolled: 1-line block ×3, first 2 shown]
	v_mul_f16_e32 v35, 0xb3a8, v126
	v_fmamk_f16 v111, v73, 0x3bf1, v133
	v_fma_f16 v129, v131, 0x2fb7, -v135
	v_mul_f16_e32 v134, 0xbbc4, v79
	v_fmac_f16_e32 v133, 0xbbf1, v73
	v_fmamk_f16 v135, v131, 0xbbc4, v35
	v_add_f16_e32 v34, v111, v34
	v_add_f16_e32 v72, v129, v72
	v_fmamk_f16 v111, v73, 0x33a8, v134
	v_mul_f16_e32 v129, 0x3b7b, v126
	v_fma_f16 v35, v131, 0xbbc4, -v35
	v_fmac_f16_e32 v134, 0xb3a8, v73
	v_add_f16_e32 v74, v133, v74
	v_add_f16_e32 v77, v111, v77
	v_mul_f16_e32 v111, 0xb5ac, v79
	v_fmamk_f16 v133, v131, 0xb5ac, v129
	v_add_f16_e32 v32, v35, v32
	v_add_f16_e32 v35, v134, v76
	v_mul_f16_e32 v76, 0x3770, v126
	v_fmamk_f16 v134, v73, 0xbb7b, v111
	v_add_f16_e32 v116, v133, v116
	v_fmac_f16_e32 v111, 0x3b7b, v73
	v_add_f16_e32 v78, v135, v78
	v_fmamk_f16 v133, v131, 0x3b15, v76
	v_fma_f16 v76, v131, 0x3b15, -v76
	v_fma_f16 v129, v131, 0xb5ac, -v129
	v_add_f16_e32 v111, v111, v112
	v_add_f16_e32 v123, v134, v123
	;; [unrolled: 1-line block ×3, first 2 shown]
	v_mul_f16_e32 v113, 0xba95, v126
	v_mul_f16_e32 v133, 0x388b, v79
	v_add_f16_e32 v76, v76, v80
	v_mul_f16_e32 v126, 0xb94e, v126
	v_mul_f16_e32 v134, 0x3b15, v79
	v_fmamk_f16 v135, v131, 0x388b, v113
	v_fmamk_f16 v80, v73, 0x3a95, v133
	v_fma_f16 v113, v131, 0x388b, -v113
	v_fmac_f16_e32 v133, 0xba95, v73
	v_add_f16_e32 v81, v129, v81
	v_fmamk_f16 v129, v73, 0xb770, v134
	v_add_f16_e32 v80, v80, v122
	v_fmamk_f16 v122, v131, 0xb9fd, v126
	v_add_f16_e32 v113, v113, v115
	v_sub_f16_e32 v115, v70, v75
	v_mul_f16_e32 v79, 0xb9fd, v79
	v_add_f16_e32 v128, v133, v128
	v_add_f16_e32 v122, v122, v130
	;; [unrolled: 1-line block ×3, first 2 shown]
	v_mul_f16_e32 v133, 0xbb7b, v115
	v_fmac_f16_e32 v134, 0x3770, v73
	v_add_f16_e32 v124, v129, v124
	v_fmamk_f16 v129, v73, 0x394e, v79
	v_add_f16_e32 v70, v70, v75
	v_fmac_f16_e32 v79, 0xb94e, v73
	v_fmamk_f16 v73, v130, 0xb5ac, v133
	v_fma_f16 v75, v131, 0xb9fd, -v126
	v_sub_f16_e32 v69, v69, v71
	v_mul_f16_e32 v71, 0xb5ac, v70
	v_mul_f16_e32 v126, 0xb9fd, v70
	v_add_f16_e32 v15, v73, v15
	v_mul_f16_e32 v73, 0x394e, v115
	v_add_f16_e32 v33, v75, v33
	v_fmamk_f16 v75, v69, 0x3b7b, v71
	v_fmac_f16_e32 v71, 0xbb7b, v69
	v_add_f16_e32 v0, v79, v0
	v_fmamk_f16 v131, v130, 0xb9fd, v73
	v_fma_f16 v79, v130, 0xb5ac, -v133
	v_add_f16_e32 v34, v75, v34
	v_add_f16_e32 v71, v71, v74
	v_fmamk_f16 v74, v69, 0xb94e, v126
	v_add_f16_e32 v75, v131, v78
	v_mul_f16_e32 v78, 0x3770, v115
	v_fma_f16 v73, v130, 0xb9fd, -v73
	v_add_f16_e32 v72, v79, v72
	v_fmac_f16_e32 v126, 0x394e, v69
	v_add_f16_e32 v74, v74, v77
	v_mul_f16_e32 v77, 0x3b15, v70
	v_fmamk_f16 v79, v130, 0x3b15, v78
	v_add_f16_e32 v32, v73, v32
	v_mul_f16_e32 v73, 0xbbf1, v115
	v_add_f16_e32 v35, v126, v35
	v_fmamk_f16 v126, v69, 0xb770, v77
	v_add_f16_e32 v79, v79, v116
	v_fma_f16 v78, v130, 0x3b15, -v78
	v_fmac_f16_e32 v77, 0x3770, v69
	v_fmamk_f16 v116, v130, 0x2fb7, v73
	v_fma_f16 v73, v130, 0x2fb7, -v73
	v_add_f16_e32 v125, v136, v125
	v_add_f16_e32 v78, v78, v81
	;; [unrolled: 1-line block ×4, first 2 shown]
	v_mul_f16_e32 v111, 0x33a8, v115
	v_mul_f16_e32 v116, 0xbbc4, v70
	v_add_f16_e32 v123, v126, v123
	v_mul_f16_e32 v126, 0x2fb7, v70
	v_add_f16_e32 v73, v73, v76
	v_fmamk_f16 v131, v130, 0xbbc4, v111
	v_fmamk_f16 v76, v69, 0xb3a8, v116
	v_mul_f16_e32 v115, 0x3a95, v115
	v_fma_f16 v111, v130, 0xbbc4, -v111
	v_add_f16_e32 v125, v134, v125
	v_add_f16_e32 v127, v135, v127
	v_fmamk_f16 v112, v69, 0x3bf1, v126
	v_fmac_f16_e32 v126, 0xbbf1, v69
	v_add_f16_e32 v76, v76, v80
	v_fmamk_f16 v80, v130, 0x388b, v115
	v_add_f16_e32 v111, v111, v113
	v_sub_f16_e32 v113, v66, v31
	v_add_f16_e32 v112, v112, v124
	v_add_f16_e32 v124, v126, v125
	;; [unrolled: 1-line block ×3, first 2 shown]
	v_mul_f16_e32 v70, 0x388b, v70
	v_add_f16_e32 v80, v80, v122
	v_add_f16_e32 v122, v58, v68
	v_mul_f16_e32 v127, 0xb94e, v113
	v_add_f16_e32 v31, v66, v31
	v_fmac_f16_e32 v116, 0x33a8, v69
	v_fmamk_f16 v126, v69, 0xba95, v70
	v_fmac_f16_e32 v70, 0x3a95, v69
	v_fmamk_f16 v69, v122, 0xb9fd, v127
	v_sub_f16_e32 v58, v58, v68
	v_mul_f16_e32 v68, 0xb9fd, v31
	v_fma_f16 v66, v130, 0x388b, -v115
	v_add_f16_e32 v0, v70, v0
	v_add_f16_e32 v15, v69, v15
	v_fma_f16 v70, v122, 0xb9fd, -v127
	v_fmamk_f16 v69, v58, 0x394e, v68
	v_mul_f16_e32 v115, 0x2fb7, v31
	v_add_f16_e32 v33, v66, v33
	v_mul_f16_e32 v66, 0x3bf1, v113
	v_fmac_f16_e32 v68, 0xb94e, v58
	v_add_f16_e32 v34, v69, v34
	v_add_f16_e32 v69, v70, v72
	v_fmamk_f16 v70, v58, 0xbbf1, v115
	v_fmamk_f16 v127, v122, 0x2fb7, v66
	v_mul_f16_e32 v72, 0xba95, v113
	v_fma_f16 v66, v122, 0x2fb7, -v66
	v_fmac_f16_e32 v115, 0x3bf1, v58
	v_add_f16_e32 v70, v70, v74
	v_mul_f16_e32 v74, 0x388b, v31
	v_add_f16_e32 v68, v68, v71
	v_add_f16_e32 v71, v127, v75
	v_fmamk_f16 v75, v122, 0x388b, v72
	v_add_f16_e32 v32, v66, v32
	v_add_f16_e32 v35, v115, v35
	v_mul_f16_e32 v66, 0x33a8, v113
	v_fmamk_f16 v115, v58, 0x3a95, v74
	v_add_f16_e32 v75, v75, v79
	v_fma_f16 v72, v122, 0x388b, -v72
	v_fmac_f16_e32 v74, 0xba95, v58
	v_fmamk_f16 v79, v122, 0xbbc4, v66
	v_add_f16_e32 v115, v115, v123
	v_mul_f16_e32 v123, 0xbbc4, v31
	v_add_f16_e32 v72, v72, v78
	v_add_f16_e32 v74, v74, v77
	;; [unrolled: 1-line block ×3, first 2 shown]
	v_mul_f16_e32 v78, 0x3770, v113
	v_fmamk_f16 v79, v58, 0xb3a8, v123
	v_mul_f16_e32 v81, 0x3b15, v31
	v_add_f16_e32 v129, v129, v132
	v_fma_f16 v66, v122, 0xbbc4, -v66
	v_fmac_f16_e32 v123, 0x33a8, v58
	v_fmamk_f16 v127, v122, 0x3b15, v78
	v_add_f16_e32 v79, v79, v112
	v_fmamk_f16 v112, v58, 0xb770, v81
	v_mul_f16_e32 v113, 0xbb7b, v113
	v_mul_f16_e32 v31, 0xb5ac, v31
	v_fma_f16 v78, v122, 0x3b15, -v78
	v_add_f16_e32 v116, v116, v128
	v_add_f16_e32 v126, v126, v129
	;; [unrolled: 1-line block ×6, first 2 shown]
	v_fmac_f16_e32 v81, 0x3770, v58
	v_fmamk_f16 v112, v122, 0xb5ac, v113
	v_fmamk_f16 v124, v58, 0x3b7b, v31
	v_add_f16_e32 v78, v78, v111
	v_sub_f16_e32 v111, v29, v30
	v_add_f16_e32 v125, v29, v30
	v_add_f16_e32 v81, v81, v116
	v_add_f16_e32 v80, v112, v80
	v_add_f16_e32 v112, v124, v126
	v_add_f16_e32 v116, v27, v28
	v_mul_f16_e32 v124, 0xb3a8, v111
	v_fma_f16 v29, v122, 0xb5ac, -v113
	v_fmac_f16_e32 v31, 0xbb7b, v58
	v_sub_f16_e32 v113, v27, v28
	v_mul_f16_e32 v30, 0xbbc4, v125
	v_fmamk_f16 v27, v116, 0xbbc4, v124
	v_add_f16_e32 v122, v29, v33
	v_add_f16_e32 v126, v31, v0
	v_mul_f16_e32 v29, 0x3770, v111
	v_fmamk_f16 v0, v113, 0x33a8, v30
	v_add_f16_e32 v27, v27, v15
	v_fma_f16 v15, v116, 0xbbc4, -v124
	v_fmac_f16_e32 v30, 0xb3a8, v113
	v_fmamk_f16 v31, v116, 0x3b15, v29
	v_mul_f16_e32 v58, 0x3b15, v125
	v_add_f16_e32 v28, v0, v34
	v_mul_f16_e32 v34, 0xb94e, v111
	v_add_f16_e32 v0, v15, v69
	v_add_f16_e32 v15, v30, v68
	;; [unrolled: 1-line block ×3, first 2 shown]
	v_fmamk_f16 v31, v113, 0xb770, v58
	v_fma_f16 v29, v116, 0x3b15, -v29
	v_fmac_f16_e32 v58, 0x3770, v113
	v_mul_f16_e32 v68, 0xb9fd, v125
	v_fmamk_f16 v69, v116, 0xb9fd, v34
	v_add_f16_e32 v33, v31, v70
	v_add_f16_e32 v29, v29, v32
	;; [unrolled: 1-line block ×3, first 2 shown]
	v_fmamk_f16 v32, v113, 0x394e, v68
	v_fma_f16 v34, v116, 0xb9fd, -v34
	v_add_f16_e32 v35, v69, v75
	v_fmac_f16_e32 v68, 0xb94e, v113
	v_mul_f16_e32 v69, 0x3a95, v111
	v_add_f16_e32 v58, v32, v115
	v_add_f16_e32 v32, v34, v72
	v_mul_f16_e32 v71, 0x388b, v125
	v_add_f16_e32 v34, v68, v74
	v_fmamk_f16 v68, v116, 0x388b, v69
	v_add_f16_e32 v70, v1, v25
	v_add_f16_sdwa v72, v1, v26 dst_sel:DWORD dst_unused:UNUSED_PAD src0_sel:WORD_1 src1_sel:DWORD
	v_fmamk_f16 v74, v113, 0xba95, v71
	v_fma_f16 v75, v116, 0x388b, -v69
	v_add_f16_e32 v69, v68, v77
	v_add_f16_e32 v68, v70, v22
	;; [unrolled: 1-line block ×4, first 2 shown]
	v_fmac_f16_e32 v71, 0x3a95, v113
	v_add_f16_e32 v66, v75, v66
	v_add_f16_e32 v74, v68, v20
	;; [unrolled: 1-line block ×3, first 2 shown]
	v_mul_f16_e32 v75, 0xbb7b, v111
	v_mul_f16_e32 v77, 0xb5ac, v125
	v_add_f16_e32 v68, v71, v73
	v_add_f16_e32 v71, v74, v16
	;; [unrolled: 1-line block ×3, first 2 shown]
	v_fmamk_f16 v73, v116, 0xb5ac, v75
	v_fmamk_f16 v74, v113, 0x3b7b, v77
	v_fma_f16 v75, v116, 0xb5ac, -v75
	v_add_f16_e32 v79, v71, v8
	v_add_f16_e32 v115, v72, v9
	;; [unrolled: 1-line block ×7, first 2 shown]
	v_fmac_f16_e32 v77, 0xbb7b, v113
	v_mul_f16_e32 v76, 0x3bf1, v111
	v_mul_f16_e32 v78, 0x2fb7, v125
	v_add_f16_e32 v79, v74, v5
	v_add_f16_e32 v75, v75, v7
	;; [unrolled: 1-line block ×3, first 2 shown]
	v_fmamk_f16 v77, v116, 0x2fb7, v76
	v_fmamk_f16 v81, v113, 0xbbf1, v78
	v_add_f16_e32 v79, v79, v10
	v_add_f16_e32 v111, v75, v11
	v_fma_f16 v115, v116, 0x2fb7, -v76
	v_add_f16_e32 v75, v77, v80
	v_add_f16_e32 v76, v81, v112
	;; [unrolled: 1-line block ×4, first 2 shown]
	v_sub_f16_e32 v81, v26, v67
	v_add_f16_e32 v111, v25, v59
	v_add_f16_e32 v77, v115, v122
	;; [unrolled: 1-line block ×4, first 2 shown]
	v_mul_f16_e32 v112, 0xb770, v81
	v_fmac_f16_e32 v78, 0x3bf1, v113
	v_add_f16_e32 v113, v26, v67
	v_add_f16_e32 v26, v79, v24
	v_add_f16_e32 v79, v80, v14
	v_fmamk_f16 v115, v111, 0x3b15, v112
	v_sub_f16_e32 v137, v23, v14
	v_sub_f16_e32 v80, v25, v59
	v_mul_f16_e32 v116, 0x3b15, v113
	v_add_f16_e32 v78, v78, v126
	v_add_f16_e32 v25, v26, v59
	;; [unrolled: 1-line block ×4, first 2 shown]
	v_mul_f16_e32 v79, 0xba95, v81
	v_mul_f16_e32 v115, 0x388b, v113
	v_mul_f16_e32 v124, 0xbbf1, v81
	v_mul_f16_e32 v126, 0x2fb7, v113
	v_mul_f16_e32 v127, 0xbb7b, v81
	v_mul_f16_e32 v130, 0xb5ac, v113
	v_mul_f16_e32 v132, 0xb94e, v81
	v_mul_f16_e32 v133, 0xb9fd, v113
	v_mul_f16_e32 v81, 0xb3a8, v81
	v_mul_f16_e32 v113, 0xbbc4, v113
	v_add_f16_e32 v139, v22, v24
	v_mul_f16_e32 v140, 0xba95, v137
	v_add_f16_e32 v14, v23, v14
	v_fmamk_f16 v67, v80, 0x3770, v116
	v_fma_f16 v112, v111, 0x3b15, -v112
	v_fmac_f16_e32 v116, 0xb770, v80
	v_fmamk_f16 v122, v111, 0x388b, v79
	v_fmamk_f16 v123, v80, 0x3a95, v115
	v_fma_f16 v79, v111, 0x388b, -v79
	v_fmac_f16_e32 v115, 0xba95, v80
	v_fmamk_f16 v125, v111, 0x2fb7, v124
	;; [unrolled: 4-line block ×5, first 2 shown]
	v_fmamk_f16 v138, v80, 0x33a8, v113
	v_fma_f16 v23, v111, 0xbbc4, -v81
	v_fmac_f16_e32 v113, 0xb3a8, v80
	v_sub_f16_e32 v22, v22, v24
	v_fmamk_f16 v24, v139, 0x388b, v140
	v_mul_f16_e32 v80, 0x388b, v14
	v_add_f16_sdwa v67, v1, v67 dst_sel:DWORD dst_unused:UNUSED_PAD src0_sel:WORD_1 src1_sel:DWORD
	v_add_f16_e32 v112, v1, v112
	v_add_f16_sdwa v116, v1, v116 dst_sel:DWORD dst_unused:UNUSED_PAD src0_sel:WORD_1 src1_sel:DWORD
	v_add_f16_e32 v122, v1, v122
	;; [unrolled: 2-line block ×12, first 2 shown]
	v_fmamk_f16 v59, v22, 0x3a95, v80
	v_mul_f16_e32 v111, 0xbb7b, v137
	v_fma_f16 v113, v139, 0x388b, -v140
	v_fmac_f16_e32 v80, 0xba95, v22
	v_mul_f16_e32 v138, 0xb5ac, v14
	v_add_f16_e32 v59, v59, v67
	v_fmamk_f16 v67, v139, 0xb5ac, v111
	v_add_f16_e32 v112, v113, v112
	v_add_f16_e32 v80, v80, v116
	v_fmamk_f16 v113, v22, 0x3b7b, v138
	v_mul_f16_e32 v116, 0xb3a8, v137
	v_add_f16_e32 v67, v67, v122
	v_fma_f16 v111, v139, 0xb5ac, -v111
	v_fmac_f16_e32 v138, 0xbb7b, v22
	v_add_f16_e32 v113, v113, v123
	v_fmamk_f16 v122, v139, 0xbbc4, v116
	v_mul_f16_e32 v123, 0xbbc4, v14
	v_add_f16_e32 v79, v111, v79
	v_add_f16_e32 v111, v138, v115
	v_mul_f16_e32 v115, 0x394e, v137
	v_add_f16_e32 v122, v122, v125
	v_fmamk_f16 v125, v22, 0x33a8, v123
	v_fmac_f16_e32 v123, 0xb3a8, v22
	v_mul_f16_e32 v140, 0xb9fd, v14
	v_fma_f16 v116, v139, 0xbbc4, -v116
	v_fmamk_f16 v138, v139, 0xb9fd, v115
	v_add_f16_e32 v125, v125, v128
	v_add_f16_e32 v123, v123, v126
	v_fmamk_f16 v126, v22, 0xb94e, v140
	v_mul_f16_e32 v128, 0x3bf1, v137
	v_add_f16_e32 v116, v116, v124
	v_add_f16_e32 v124, v138, v129
	v_fma_f16 v115, v139, 0xb9fd, -v115
	v_mul_f16_e32 v129, 0x2fb7, v14
	v_add_f16_e32 v126, v126, v131
	v_fmamk_f16 v131, v139, 0x2fb7, v128
	v_mul_f16_e32 v137, 0x3770, v137
	v_fma_f16 v128, v139, 0x2fb7, -v128
	v_add_f16_e32 v115, v115, v127
	v_fmamk_f16 v127, v22, 0xbbf1, v129
	v_add_f16_e32 v131, v131, v134
	v_fmac_f16_e32 v129, 0x3bf1, v22
	v_fmamk_f16 v134, v139, 0x3b15, v137
	v_add_f16_e32 v128, v128, v132
	v_sub_f16_e32 v132, v21, v13
	v_add_f16_e32 v127, v127, v135
	v_mul_f16_e32 v14, 0x3b15, v14
	v_add_f16_e32 v129, v129, v133
	v_add_f16_e32 v133, v134, v136
	;; [unrolled: 1-line block ×3, first 2 shown]
	v_mul_f16_e32 v136, 0xbbf1, v132
	v_add_f16_e32 v13, v21, v13
	v_fmac_f16_e32 v140, 0x394e, v22
	v_fmamk_f16 v134, v22, 0xb770, v14
	v_fma_f16 v21, v139, 0x3b15, -v137
	v_fmac_f16_e32 v14, 0x3770, v22
	v_sub_f16_e32 v19, v20, v19
	v_fmamk_f16 v20, v135, 0x2fb7, v136
	v_mul_f16_e32 v22, 0x2fb7, v13
	v_add_f16_e32 v81, v134, v81
	v_add_f16_e32 v21, v21, v23
	;; [unrolled: 1-line block ×4, first 2 shown]
	v_fmamk_f16 v20, v19, 0x3bf1, v22
	v_mul_f16_e32 v23, 0xb3a8, v132
	v_fma_f16 v24, v135, 0x2fb7, -v136
	v_fmac_f16_e32 v22, 0xbbf1, v19
	v_mul_f16_e32 v134, 0xbbc4, v13
	v_add_f16_e32 v20, v20, v59
	v_fmamk_f16 v59, v135, 0xbbc4, v23
	v_add_f16_e32 v24, v24, v112
	v_add_f16_e32 v22, v22, v80
	v_fmamk_f16 v80, v19, 0x33a8, v134
	v_mul_f16_e32 v112, 0x3b7b, v132
	v_fma_f16 v23, v135, 0xbbc4, -v23
	v_fmac_f16_e32 v134, 0xb3a8, v19
	v_add_f16_e32 v59, v59, v67
	v_add_f16_e32 v67, v80, v113
	v_fmamk_f16 v80, v135, 0xb5ac, v112
	v_mul_f16_e32 v113, 0xb5ac, v13
	v_add_f16_e32 v23, v23, v79
	v_add_f16_e32 v79, v134, v111
	v_mul_f16_e32 v111, 0x3770, v132
	v_add_f16_e32 v80, v80, v122
	v_fmamk_f16 v122, v19, 0xbb7b, v113
	v_fma_f16 v112, v135, 0xb5ac, -v112
	v_fmac_f16_e32 v113, 0x3b7b, v19
	v_fmamk_f16 v134, v135, 0x3b15, v111
	v_mul_f16_e32 v136, 0x3b15, v13
	v_add_f16_e32 v122, v122, v125
	v_add_f16_e32 v112, v112, v116
	;; [unrolled: 1-line block ×4, first 2 shown]
	v_fmamk_f16 v123, v19, 0xb770, v136
	v_mul_f16_e32 v124, 0xba95, v132
	v_fma_f16 v111, v135, 0x3b15, -v111
	v_mul_f16_e32 v125, 0x388b, v13
	v_mul_f16_e32 v132, 0xb94e, v132
	v_add_f16_e32 v123, v123, v126
	v_fmamk_f16 v126, v135, 0x388b, v124
	v_add_f16_e32 v111, v111, v115
	v_fmamk_f16 v115, v19, 0x3a95, v125
	v_fma_f16 v124, v135, 0x388b, -v124
	v_fmac_f16_e32 v125, 0xba95, v19
	v_add_f16_e32 v126, v126, v131
	v_mul_f16_e32 v13, 0xb9fd, v13
	v_add_f16_e32 v115, v115, v127
	v_fmamk_f16 v127, v135, 0xb9fd, v132
	v_add_f16_e32 v124, v124, v128
	v_sub_f16_e32 v128, v17, v12
	v_add_f16_e32 v131, v16, v18
	v_add_f16_e32 v12, v17, v12
	;; [unrolled: 1-line block ×3, first 2 shown]
	v_fmac_f16_e32 v136, 0x3770, v19
	v_mul_f16_e32 v133, 0xbb7b, v128
	v_add_f16_e32 v125, v125, v129
	v_fmamk_f16 v129, v19, 0x394e, v13
	v_fma_f16 v17, v135, 0xb9fd, -v132
	v_fmac_f16_e32 v13, 0xb94e, v19
	v_sub_f16_e32 v16, v16, v18
	v_fmamk_f16 v18, v131, 0xb5ac, v133
	v_mul_f16_e32 v19, 0xb5ac, v12
	v_add_f16_e32 v81, v129, v81
	v_add_f16_e32 v17, v17, v21
	;; [unrolled: 1-line block ×4, first 2 shown]
	v_fmamk_f16 v14, v16, 0x3b7b, v19
	v_mul_f16_e32 v18, 0x394e, v128
	v_fma_f16 v21, v131, 0xb5ac, -v133
	v_fmac_f16_e32 v19, 0xbb7b, v16
	v_mul_f16_e32 v129, 0xb9fd, v12
	v_add_f16_e32 v14, v14, v20
	v_fmamk_f16 v20, v131, 0xb9fd, v18
	v_add_f16_e32 v21, v21, v24
	v_add_f16_e32 v19, v19, v22
	v_fmamk_f16 v22, v16, 0xb94e, v129
	v_mul_f16_e32 v24, 0x3770, v128
	v_fma_f16 v18, v131, 0xb9fd, -v18
	v_fmac_f16_e32 v129, 0x394e, v16
	v_add_f16_e32 v20, v20, v59
	v_add_f16_e32 v22, v22, v67
	v_fmamk_f16 v59, v131, 0x3b15, v24
	v_mul_f16_e32 v67, 0x3b15, v12
	v_add_f16_e32 v18, v18, v23
	v_add_f16_e32 v23, v129, v79
	v_mul_f16_e32 v79, 0xbbf1, v128
	v_add_f16_e32 v59, v59, v80
	v_fmamk_f16 v80, v16, 0xb770, v67
	v_fma_f16 v24, v131, 0x3b15, -v24
	v_fmac_f16_e32 v67, 0x3770, v16
	v_fmamk_f16 v129, v131, 0x2fb7, v79
	v_mul_f16_e32 v132, 0x2fb7, v12
	v_add_f16_e32 v80, v80, v122
	v_add_f16_e32 v24, v24, v112
	;; [unrolled: 1-line block ×4, first 2 shown]
	v_fmamk_f16 v113, v16, 0x3bf1, v132
	v_mul_f16_e32 v116, 0x33a8, v128
	v_fma_f16 v79, v131, 0x2fb7, -v79
	v_mul_f16_e32 v122, 0xbbc4, v12
	v_mul_f16_e32 v128, 0x3a95, v128
	v_add_f16_e32 v113, v113, v123
	v_fmamk_f16 v123, v131, 0xbbc4, v116
	v_add_f16_e32 v79, v79, v111
	v_fmamk_f16 v111, v16, 0xb3a8, v122
	v_fma_f16 v116, v131, 0xbbc4, -v116
	v_fmac_f16_e32 v122, 0x33a8, v16
	v_add_f16_e32 v123, v123, v126
	v_mul_f16_e32 v12, 0x388b, v12
	v_add_f16_e32 v111, v111, v115
	v_fmamk_f16 v115, v131, 0x388b, v128
	v_add_f16_e32 v116, v116, v124
	v_sub_f16_e32 v124, v9, v11
	v_add_f16_e32 v126, v8, v10
	v_add_f16_e32 v9, v9, v11
	;; [unrolled: 1-line block ×3, first 2 shown]
	v_fmac_f16_e32 v132, 0xbbf1, v16
	v_mul_f16_e32 v127, 0xb94e, v124
	v_add_f16_e32 v122, v122, v125
	v_fmamk_f16 v125, v16, 0xba95, v12
	v_fma_f16 v11, v131, 0x388b, -v128
	v_fmac_f16_e32 v12, 0x3a95, v16
	v_sub_f16_e32 v8, v8, v10
	v_fmamk_f16 v10, v126, 0xb9fd, v127
	v_mul_f16_e32 v16, 0xb9fd, v9
	v_add_f16_e32 v81, v125, v81
	v_add_f16_e32 v11, v11, v17
	;; [unrolled: 1-line block ×4, first 2 shown]
	v_fmamk_f16 v12, v8, 0x394e, v16
	v_mul_f16_e32 v13, 0x3bf1, v124
	v_fma_f16 v17, v126, 0xb9fd, -v127
	v_fmac_f16_e32 v16, 0xb94e, v8
	v_mul_f16_e32 v125, 0x2fb7, v9
	v_add_f16_e32 v12, v12, v14
	v_fmamk_f16 v14, v126, 0x2fb7, v13
	v_add_f16_e32 v17, v17, v21
	v_add_f16_e32 v16, v16, v19
	v_fmamk_f16 v19, v8, 0xbbf1, v125
	v_mul_f16_e32 v21, 0xba95, v124
	v_add_f16_e32 v14, v14, v20
	v_add_f16_e32 v130, v140, v130
	v_fma_f16 v13, v126, 0x2fb7, -v13
	v_add_f16_e32 v19, v19, v22
	v_fmamk_f16 v20, v126, 0x388b, v21
	v_mul_f16_e32 v22, 0x388b, v9
	v_fmac_f16_e32 v125, 0x3bf1, v8
	v_fma_f16 v21, v126, 0x388b, -v21
	v_mul_f16_e32 v127, 0xbbc4, v9
	v_add_f16_e32 v20, v20, v59
	v_fmamk_f16 v59, v8, 0x3a95, v22
	v_add_f16_e32 v130, v136, v130
	v_add_f16_e32 v13, v13, v18
	;; [unrolled: 1-line block ×3, first 2 shown]
	v_mul_f16_e32 v23, 0x33a8, v124
	v_add_f16_e32 v80, v59, v80
	v_add_f16_e32 v21, v21, v24
	v_fmamk_f16 v24, v8, 0xb3a8, v127
	v_mul_f16_e32 v59, 0x3770, v124
	v_add_f16_e32 v129, v132, v130
	v_fmamk_f16 v125, v126, 0xbbc4, v23
	v_fmac_f16_e32 v127, 0x33a8, v8
	v_add_f16_e32 v113, v24, v113
	v_fmamk_f16 v24, v126, 0x3b15, v59
	v_mul_f16_e32 v124, 0xbb7b, v124
	v_fmac_f16_e32 v22, 0xba95, v8
	v_add_f16_e32 v112, v125, v112
	v_add_f16_e32 v125, v127, v129
	;; [unrolled: 1-line block ×3, first 2 shown]
	v_fma_f16 v24, v126, 0x3b15, -v59
	v_fmamk_f16 v59, v126, 0xb5ac, v124
	v_sub_f16_e32 v127, v6, v7
	v_add_f16_e32 v22, v22, v67
	v_fma_f16 v23, v126, 0xbbc4, -v23
	v_mul_f16_e32 v67, 0x3b15, v9
	v_mul_f16_e32 v9, 0xb5ac, v9
	v_add_f16_e32 v115, v59, v115
	v_add_f16_e32 v128, v4, v5
	v_mul_f16_e32 v59, 0xb3a8, v127
	v_add_f16_e32 v6, v6, v7
	v_add_f16_e32 v23, v23, v79
	v_fmamk_f16 v79, v8, 0xb770, v67
	v_fmac_f16_e32 v67, 0x3770, v8
	v_add_f16_e32 v116, v24, v116
	v_fmamk_f16 v24, v8, 0x3b7b, v9
	v_fma_f16 v7, v126, 0xb5ac, -v124
	v_fmac_f16_e32 v9, 0xbb7b, v8
	v_sub_f16_e32 v4, v4, v5
	v_fmamk_f16 v5, v128, 0xbbc4, v59
	v_mul_f16_e32 v8, 0xbbc4, v6
	v_add_f16_e32 v7, v7, v11
	v_add_f16_e32 v1, v9, v1
	v_fma_f16 v11, v128, 0xbbc4, -v59
	v_add_f16_e32 v5, v5, v10
	v_fmamk_f16 v9, v4, 0x33a8, v8
	v_mul_f16_e32 v10, 0x3770, v127
	v_add_f16_e32 v111, v79, v111
	v_add_f16_e32 v81, v24, v81
	v_fmac_f16_e32 v8, 0xb3a8, v4
	v_mul_f16_e32 v79, 0x3b15, v6
	v_add_f16_e32 v9, v9, v12
	v_fmamk_f16 v12, v128, 0x3b15, v10
	v_add_f16_e32 v24, v11, v17
	v_mul_f16_e32 v11, 0xb94e, v127
	v_fma_f16 v10, v128, 0x3b15, -v10
	v_add_f16_e32 v122, v67, v122
	v_add_f16_e32 v67, v8, v16
	v_fmamk_f16 v8, v4, 0xb770, v79
	v_add_f16_e32 v12, v12, v14
	v_fmac_f16_e32 v79, 0x3770, v4
	v_fmamk_f16 v14, v128, 0xb9fd, v11
	v_mul_f16_e32 v16, 0xb9fd, v6
	v_add_f16_e32 v59, v10, v13
	v_mul_f16_e32 v10, 0x3a95, v127
	v_fma_f16 v11, v128, 0xb9fd, -v11
	v_add_f16_e32 v79, v79, v18
	v_add_f16_e32 v13, v14, v20
	v_fmamk_f16 v14, v4, 0x394e, v16
	v_fmamk_f16 v17, v128, 0x388b, v10
	v_mul_f16_e32 v18, 0x388b, v6
	v_add_f16_e32 v11, v11, v21
	v_fma_f16 v10, v128, 0x388b, -v10
	v_mul_f16_e32 v21, 0xb5ac, v6
	v_mul_f16_e32 v6, 0x2fb7, v6
	v_fmac_f16_e32 v16, 0xb94e, v4
	v_mul_f16_e32 v20, 0xbb7b, v127
	v_add_f16_e32 v14, v14, v80
	v_add_f16_e32 v17, v17, v112
	;; [unrolled: 1-line block ×3, first 2 shown]
	v_fmamk_f16 v23, v4, 0x3b7b, v21
	v_mul_f16_e32 v80, 0x3bf1, v127
	v_fmamk_f16 v112, v4, 0xbbf1, v6
	v_fmac_f16_e32 v6, 0x3bf1, v4
	v_add_f16_e32 v8, v8, v19
	v_add_f16_e32 v16, v16, v22
	v_fmamk_f16 v19, v4, 0xba95, v18
	v_fmamk_f16 v22, v128, 0xb5ac, v20
	v_pack_b32_f16 v2, v2, v3
	v_pack_b32_f16 v3, v27, v28
	v_add_f16_e32 v23, v23, v111
	v_fmac_f16_e32 v21, 0xbb7b, v4
	v_fmamk_f16 v111, v128, 0x2fb7, v80
	v_fma_f16 v80, v128, 0x2fb7, -v80
	v_add_f16_e32 v1, v6, v1
	v_pack_b32_f16 v6, v30, v33
	v_pack_b32_f16 v27, v35, v58
	v_fmac_f16_e32 v18, 0x3a95, v4
	v_fma_f16 v20, v128, 0xb5ac, -v20
	v_pack_b32_f16 v28, v69, v70
	v_pack_b32_f16 v30, v72, v73
	;; [unrolled: 1-line block ×4, first 2 shown]
	v_add_f16_e32 v19, v19, v113
	v_add_f16_e32 v22, v22, v123
	ds_write2_b32 v117, v2, v3 offset1:26
	ds_write2_b32 v117, v6, v27 offset0:52 offset1:78
	ds_write2_b32 v117, v28, v30 offset0:104 offset1:130
	ds_write2_b32 v117, v33, v35 offset0:156 offset1:182
	v_pack_b32_f16 v2, v71, v74
	v_pack_b32_f16 v3, v66, v68
	v_add_f16_e32 v4, v21, v122
	v_add_f16_e32 v21, v111, v115
	;; [unrolled: 1-line block ×4, first 2 shown]
	v_pack_b32_f16 v6, v32, v34
	v_pack_b32_f16 v27, v29, v31
	v_add_nc_u32_e32 v28, 0x400, v117
	v_add_f16_e32 v18, v18, v125
	v_add_f16_e32 v20, v20, v116
	v_pack_b32_f16 v0, v0, v15
	v_pack_b32_f16 v15, v25, v26
	;; [unrolled: 1-line block ×5, first 2 shown]
	ds_write2_b32 v117, v2, v3 offset0:208 offset1:234
	ds_write2_b32 v28, v6, v27 offset0:4 offset1:30
	ds_write_b32 v117, v0 offset:1248
	ds_write2_b32 v118, v15, v5 offset1:26
	ds_write2_b32 v118, v8, v9 offset0:52 offset1:78
	v_pack_b32_f16 v0, v17, v19
	v_pack_b32_f16 v2, v22, v23
	;; [unrolled: 1-line block ×8, first 2 shown]
	v_add_nc_u32_e32 v8, 0x400, v118
	v_pack_b32_f16 v9, v24, v67
	ds_write2_b32 v118, v0, v2 offset0:104 offset1:130
	ds_write2_b32 v118, v3, v1 offset0:156 offset1:182
	;; [unrolled: 1-line block ×4, first 2 shown]
	ds_write_b32 v118, v9 offset:1248
	s_waitcnt lgkmcnt(0)
	s_barrier
	buffer_gl0_inv
	ds_read2_b32 v[4:5], v82 offset1:52
	ds_read2_b32 v[22:23], v120 offset0:82 offset1:134
	ds_read2_b32 v[20:21], v64 offset0:164 offset1:216
	;; [unrolled: 1-line block ×11, first 2 shown]
	s_and_saveexec_b32 s0, vcc_lo
	s_cbranch_execz .LBB0_7
; %bb.6:
	ds_read_b32 v59, v82 offset:1248
	ds_read_b32 v24, v82 offset:2600
	;; [unrolled: 1-line block ×4, first 2 shown]
	s_waitcnt lgkmcnt(3)
	v_lshrrev_b32_e32 v79, 16, v59
	s_waitcnt lgkmcnt(2)
	v_lshrrev_b32_e32 v67, 16, v24
	;; [unrolled: 2-line block ×4, first 2 shown]
.LBB0_7:
	s_or_b32 exec_lo, exec_lo, s0
	s_waitcnt lgkmcnt(10)
	v_lshrrev_b32_e32 v26, 16, v22
	s_waitcnt lgkmcnt(9)
	v_lshrrev_b32_e32 v27, 16, v20
	s_waitcnt lgkmcnt(8)
	v_lshrrev_b32_e32 v28, 16, v18
	v_lshrrev_b32_e32 v30, 16, v23
	v_lshrrev_b32_e32 v31, 16, v21
	v_mul_f16_sdwa v76, v54, v26 dst_sel:DWORD dst_unused:UNUSED_PAD src0_sel:WORD_1 src1_sel:DWORD
	v_mul_f16_sdwa v77, v54, v22 dst_sel:DWORD dst_unused:UNUSED_PAD src0_sel:WORD_1 src1_sel:DWORD
	;; [unrolled: 1-line block ×4, first 2 shown]
	v_lshrrev_b32_e32 v32, 16, v19
	s_waitcnt lgkmcnt(6)
	v_lshrrev_b32_e32 v34, 16, v16
	v_fmac_f16_e32 v76, v54, v22
	v_fma_f16 v22, v54, v26, -v77
	v_fmac_f16_e32 v78, v55, v20
	v_fma_f16 v20, v55, v27, -v80
	v_mul_f16_sdwa v26, v56, v28 dst_sel:DWORD dst_unused:UNUSED_PAD src0_sel:WORD_1 src1_sel:DWORD
	v_mul_f16_sdwa v27, v56, v18 dst_sel:DWORD dst_unused:UNUSED_PAD src0_sel:WORD_1 src1_sel:DWORD
	;; [unrolled: 1-line block ×5, first 2 shown]
	s_waitcnt lgkmcnt(5)
	v_lshrrev_b32_e32 v35, 16, v12
	s_waitcnt lgkmcnt(4)
	v_lshrrev_b32_e32 v58, 16, v14
	v_lshrrev_b32_e32 v65, 16, v17
	v_fmac_f16_e32 v26, v56, v18
	v_fma_f16 v18, v56, v28, -v27
	v_fmac_f16_e32 v54, v51, v23
	v_fma_f16 v23, v51, v30, -v55
	v_fmac_f16_e32 v77, v52, v21
	v_mul_f16_sdwa v21, v52, v21 dst_sel:DWORD dst_unused:UNUSED_PAD src0_sel:WORD_1 src1_sel:DWORD
	v_mul_f16_sdwa v27, v53, v32 dst_sel:DWORD dst_unused:UNUSED_PAD src0_sel:WORD_1 src1_sel:DWORD
	;; [unrolled: 1-line block ×5, first 2 shown]
	v_lshrrev_b32_e32 v66, 16, v13
	v_lshrrev_b32_e32 v68, 16, v15
	v_fma_f16 v21, v52, v31, -v21
	v_fmac_f16_e32 v27, v53, v19
	v_fma_f16 v19, v53, v32, -v28
	v_fmac_f16_e32 v30, v48, v16
	v_fma_f16 v16, v48, v34, -v51
	v_mul_f16_sdwa v28, v49, v35 dst_sel:DWORD dst_unused:UNUSED_PAD src0_sel:WORD_1 src1_sel:DWORD
	v_mul_f16_sdwa v31, v49, v12 dst_sel:DWORD dst_unused:UNUSED_PAD src0_sel:WORD_1 src1_sel:DWORD
	;; [unrolled: 1-line block ×5, first 2 shown]
	s_waitcnt lgkmcnt(2)
	v_lshrrev_b32_e32 v70, 16, v8
	s_waitcnt lgkmcnt(1)
	v_lshrrev_b32_e32 v71, 16, v10
	v_fmac_f16_e32 v28, v49, v12
	v_fma_f16 v12, v49, v35, -v31
	v_fmac_f16_e32 v32, v50, v14
	v_fma_f16 v14, v50, v58, -v34
	v_fmac_f16_e32 v48, v45, v17
	v_mul_f16_sdwa v17, v45, v17 dst_sel:DWORD dst_unused:UNUSED_PAD src0_sel:WORD_1 src1_sel:DWORD
	v_mul_f16_sdwa v31, v46, v66 dst_sel:DWORD dst_unused:UNUSED_PAD src0_sel:WORD_1 src1_sel:DWORD
	;; [unrolled: 1-line block ×5, first 2 shown]
	s_waitcnt lgkmcnt(0)
	v_lshrrev_b32_e32 v72, 16, v6
	v_lshrrev_b32_e32 v74, 16, v9
	;; [unrolled: 1-line block ×3, first 2 shown]
	v_fma_f16 v17, v45, v65, -v17
	v_fmac_f16_e32 v31, v46, v13
	v_fma_f16 v13, v46, v66, -v34
	v_fmac_f16_e32 v35, v47, v15
	v_fma_f16 v15, v47, v68, -v49
	v_mul_f16_sdwa v34, v42, v70 dst_sel:DWORD dst_unused:UNUSED_PAD src0_sel:WORD_1 src1_sel:DWORD
	v_mul_f16_sdwa v45, v42, v8 dst_sel:DWORD dst_unused:UNUSED_PAD src0_sel:WORD_1 src1_sel:DWORD
	;; [unrolled: 1-line block ×4, first 2 shown]
	v_lshrrev_b32_e32 v81, 16, v7
	v_mul_f16_sdwa v49, v44, v72 dst_sel:DWORD dst_unused:UNUSED_PAD src0_sel:WORD_1 src1_sel:DWORD
	v_fmac_f16_e32 v34, v42, v8
	v_fma_f16 v8, v42, v70, -v45
	v_fmac_f16_e32 v46, v43, v10
	v_fma_f16 v10, v43, v71, -v47
	v_mul_f16_sdwa v42, v39, v74 dst_sel:DWORD dst_unused:UNUSED_PAD src0_sel:WORD_1 src1_sel:DWORD
	v_mul_f16_sdwa v43, v39, v9 dst_sel:DWORD dst_unused:UNUSED_PAD src0_sel:WORD_1 src1_sel:DWORD
	;; [unrolled: 1-line block ×4, first 2 shown]
	v_lshrrev_b32_e32 v25, 16, v4
	v_lshrrev_b32_e32 v29, 16, v5
	v_fmac_f16_e32 v49, v44, v6
	v_mul_f16_sdwa v6, v44, v6 dst_sel:DWORD dst_unused:UNUSED_PAD src0_sel:WORD_1 src1_sel:DWORD
	v_fmac_f16_e32 v42, v39, v9
	v_fma_f16 v9, v39, v74, -v43
	v_fmac_f16_e32 v45, v40, v11
	v_fma_f16 v11, v40, v75, -v47
	v_sub_f16_e32 v39, v4, v78
	v_mul_f16_sdwa v40, v41, v81 dst_sel:DWORD dst_unused:UNUSED_PAD src0_sel:WORD_1 src1_sel:DWORD
	v_sub_f16_e32 v26, v76, v26
	v_mul_f16_sdwa v43, v41, v7 dst_sel:DWORD dst_unused:UNUSED_PAD src0_sel:WORD_1 src1_sel:DWORD
	v_lshrrev_b32_e32 v33, 16, v2
	v_fma_f16 v6, v44, v72, -v6
	v_sub_f16_e32 v20, v25, v20
	v_fma_f16 v4, v4, 2.0, -v39
	v_sub_f16_e32 v18, v22, v18
	v_fma_f16 v44, v76, 2.0, -v26
	v_fmac_f16_e32 v40, v41, v7
	v_fma_f16 v7, v41, v81, -v43
	v_sub_f16_e32 v43, v5, v77
	v_sub_f16_e32 v21, v29, v21
	;; [unrolled: 1-line block ×4, first 2 shown]
	v_lshrrev_b32_e32 v64, 16, v3
	v_fma_f16 v25, v25, 2.0, -v20
	v_fma_f16 v22, v22, 2.0, -v18
	v_sub_f16_e32 v41, v4, v44
	v_fma_f16 v5, v5, 2.0, -v43
	v_fma_f16 v29, v29, 2.0, -v21
	v_fma_f16 v44, v54, 2.0, -v27
	v_fma_f16 v23, v23, 2.0, -v19
	v_add_f16_e32 v18, v39, v18
	v_sub_f16_e32 v26, v20, v26
	v_sub_f16_e32 v28, v2, v28
	;; [unrolled: 1-line block ×5, first 2 shown]
	v_lshrrev_b32_e32 v69, 16, v0
	v_lshrrev_b32_e32 v73, 16, v1
	v_sub_f16_e32 v31, v3, v31
	v_sub_f16_e32 v35, v48, v35
	v_sub_f16_e32 v13, v64, v13
	v_sub_f16_e32 v15, v17, v15
	v_sub_f16_e32 v22, v25, v22
	v_sub_f16_e32 v44, v5, v44
	v_sub_f16_e32 v23, v29, v23
	v_fma_f16 v39, v39, 2.0, -v18
	v_fma_f16 v20, v20, 2.0, -v26
	v_add_f16_e32 v19, v43, v19
	v_fma_f16 v2, v2, 2.0, -v28
	v_fma_f16 v30, v30, 2.0, -v32
	v_sub_f16_e32 v27, v21, v27
	v_fma_f16 v33, v33, 2.0, -v12
	v_fma_f16 v16, v16, 2.0, -v14
	v_add_f16_e32 v14, v28, v14
	v_sub_f16_e32 v32, v12, v32
	v_fma_f16 v3, v3, 2.0, -v31
	v_fma_f16 v47, v48, 2.0, -v35
	;; [unrolled: 1-line block ×4, first 2 shown]
	v_sub_f16_e32 v46, v0, v46
	v_sub_f16_e32 v10, v69, v10
	v_sub_f16_e32 v49, v34, v49
	v_sub_f16_e32 v6, v8, v6
	v_sub_f16_e32 v45, v1, v45
	v_sub_f16_e32 v11, v73, v11
	v_sub_f16_e32 v40, v42, v40
	v_sub_f16_e32 v7, v9, v7
	v_fma_f16 v4, v4, 2.0, -v41
	v_fma_f16 v25, v25, 2.0, -v22
	;; [unrolled: 1-line block ×5, first 2 shown]
	v_sub_f16_e32 v30, v2, v30
	v_fma_f16 v21, v21, 2.0, -v27
	v_sub_f16_e32 v16, v33, v16
	v_fma_f16 v28, v28, 2.0, -v14
	v_fma_f16 v12, v12, 2.0, -v32
	v_pack_b32_f16 v20, v39, v20
	v_sub_f16_e32 v47, v3, v47
	v_sub_f16_e32 v17, v48, v17
	v_fma_f16 v0, v0, 2.0, -v46
	v_fma_f16 v50, v69, 2.0, -v10
	;; [unrolled: 1-line block ×8, first 2 shown]
	v_pack_b32_f16 v22, v41, v22
	v_pack_b32_f16 v18, v18, v26
	v_fma_f16 v2, v2, 2.0, -v30
	v_fma_f16 v33, v33, 2.0, -v16
	v_add_f16_e32 v15, v31, v15
	v_sub_f16_e32 v35, v13, v35
	v_add_f16_e32 v6, v46, v6
	v_sub_f16_e32 v49, v10, v49
	v_pack_b32_f16 v25, v4, v25
	ds_write_b32 v82, v20 offset:1352
	ds_write_b32 v82, v22 offset:2704
	;; [unrolled: 1-line block ×3, first 2 shown]
	v_pack_b32_f16 v5, v5, v29
	v_pack_b32_f16 v20, v43, v21
	;; [unrolled: 1-line block ×3, first 2 shown]
	v_add_nc_u32_e32 v4, 0x400, v82
	v_fma_f16 v3, v3, 2.0, -v47
	v_fma_f16 v48, v48, 2.0, -v17
	v_sub_f16_e32 v34, v0, v34
	v_sub_f16_e32 v8, v50, v8
	;; [unrolled: 1-line block ×4, first 2 shown]
	v_pack_b32_f16 v18, v44, v23
	v_add_f16_e32 v7, v45, v7
	v_sub_f16_e32 v40, v11, v40
	v_fma_f16 v31, v31, 2.0, -v15
	v_fma_f16 v13, v13, 2.0, -v35
	;; [unrolled: 1-line block ×4, first 2 shown]
	ds_write2_b32 v82, v25, v5 offset1:52
	ds_write_b32 v82, v18 offset:2912
	v_pack_b32_f16 v18, v19, v27
	v_pack_b32_f16 v19, v2, v33
	ds_write2_b32 v4, v20, v12 offset0:134 offset1:186
	v_pack_b32_f16 v12, v30, v16
	v_pack_b32_f16 v14, v14, v32
	v_add_nc_u32_e32 v2, 0x1000, v82
	v_pack_b32_f16 v16, v47, v17
	v_add_nc_u32_e32 v5, 0xc00, v82
	v_fma_f16 v0, v0, 2.0, -v34
	v_fma_f16 v50, v50, 2.0, -v8
	;; [unrolled: 1-line block ×4, first 2 shown]
	v_pack_b32_f16 v3, v3, v48
	v_pack_b32_f16 v15, v15, v35
	v_fma_f16 v45, v45, 2.0, -v7
	v_fma_f16 v11, v11, 2.0, -v40
	ds_write2_b32 v2, v18, v14 offset0:42 offset1:94
	ds_write2_b32 v82, v19, v3 offset0:104 offset1:156
	v_pack_b32_f16 v3, v31, v13
	ds_write2_b32 v5, v12, v16 offset0:12 offset1:64
	ds_write_b32 v82, v15 offset:4680
	v_pack_b32_f16 v10, v46, v10
	v_add_nc_u32_e32 v12, 0x600, v82
	v_pack_b32_f16 v13, v6, v49
	v_add_nc_u32_e32 v6, 0x200, v82
	v_pack_b32_f16 v0, v0, v50
	v_pack_b32_f16 v1, v1, v51
	;; [unrolled: 1-line block ×6, first 2 shown]
	ds_write2_b32 v12, v3, v10 offset0:110 offset1:162
	ds_write2_b32 v6, v0, v1 offset0:80 offset1:132
	ds_write_b32 v82, v11 offset:2392
	ds_write2_b32 v5, v8, v9 offset0:116 offset1:168
	ds_write2_b32 v2, v13, v7 offset0:198 offset1:250
	s_and_saveexec_b32 s0, vcc_lo
	s_cbranch_execz .LBB0_9
; %bb.8:
	v_mul_f16_sdwa v0, v37, v61 dst_sel:DWORD dst_unused:UNUSED_PAD src0_sel:WORD_1 src1_sel:DWORD
	v_mul_f16_sdwa v1, v36, v24 dst_sel:DWORD dst_unused:UNUSED_PAD src0_sel:WORD_1 src1_sel:DWORD
	v_mul_f16_sdwa v3, v37, v60 dst_sel:DWORD dst_unused:UNUSED_PAD src0_sel:WORD_1 src1_sel:DWORD
	v_mul_f16_sdwa v7, v36, v67 dst_sel:DWORD dst_unused:UNUSED_PAD src0_sel:WORD_1 src1_sel:DWORD
	v_mul_f16_sdwa v8, v38, v63 dst_sel:DWORD dst_unused:UNUSED_PAD src0_sel:WORD_1 src1_sel:DWORD
	v_mul_f16_sdwa v9, v38, v62 dst_sel:DWORD dst_unused:UNUSED_PAD src0_sel:WORD_1 src1_sel:DWORD
	v_fmac_f16_e32 v0, v37, v60
	v_fma_f16 v1, v36, v67, -v1
	v_fmac_f16_e32 v7, v36, v24
	v_fmac_f16_e32 v8, v38, v62
	v_fma_f16 v3, v37, v61, -v3
	v_fma_f16 v9, v38, v63, -v9
	v_sub_f16_e32 v0, v59, v0
	v_sub_f16_e32 v8, v7, v8
	;; [unrolled: 1-line block ×4, first 2 shown]
	v_fma_f16 v10, v59, 2.0, -v0
	v_fma_f16 v7, v7, 2.0, -v8
	;; [unrolled: 1-line block ×4, first 2 shown]
	v_add_f16_e32 v9, v0, v9
	v_sub_f16_e32 v8, v3, v8
	v_sub_f16_e32 v7, v10, v7
	;; [unrolled: 1-line block ×3, first 2 shown]
	v_fma_f16 v0, v0, 2.0, -v9
	v_fma_f16 v3, v3, 2.0, -v8
	;; [unrolled: 1-line block ×4, first 2 shown]
	v_pack_b32_f16 v1, v7, v1
	v_pack_b32_f16 v0, v0, v3
	;; [unrolled: 1-line block ×4, first 2 shown]
	ds_write_b32 v82, v0 offset:2600
	ds_write_b32 v82, v1 offset:3952
	;; [unrolled: 1-line block ×4, first 2 shown]
.LBB0_9:
	s_or_b32 exec_lo, exec_lo, s0
	s_waitcnt lgkmcnt(0)
	s_barrier
	buffer_gl0_inv
	ds_read2_b32 v[7:8], v82 offset1:52
	v_add_nc_u32_e32 v3, 0x800, v82
	s_mov_b32 s6, 0x7ab2bedd
	s_mov_b32 s7, 0x3f483c97
	v_mad_u64_u32 v[17:18], null, s8, v107, 0
	ds_read2_b32 v[0:1], v3 offset0:112 offset1:164
	s_mul_i32 s3, s8, 0xa90
	s_waitcnt lgkmcnt(1)
	v_lshrrev_b32_e32 v9, 16, v7
	v_mul_f16_sdwa v10, v110, v7 dst_sel:DWORD dst_unused:UNUSED_PAD src0_sel:WORD_1 src1_sel:DWORD
	v_lshrrev_b32_e32 v26, 16, v8
	v_mul_f16_sdwa v11, v110, v9 dst_sel:DWORD dst_unused:UNUSED_PAD src0_sel:WORD_1 src1_sel:DWORD
	v_fma_f16 v9, v110, v9, -v10
	s_waitcnt lgkmcnt(0)
	v_lshrrev_b32_e32 v13, 16, v1
	v_mul_f16_sdwa v12, v109, v1 dst_sel:DWORD dst_unused:UNUSED_PAD src0_sel:WORD_1 src1_sel:DWORD
	v_mul_f16_sdwa v19, v108, v26 dst_sel:DWORD dst_unused:UNUSED_PAD src0_sel:WORD_1 src1_sel:DWORD
	v_fmac_f16_e32 v11, v110, v7
	v_cvt_f32_f16_e32 v7, v9
	v_mul_f16_sdwa v20, v109, v13 dst_sel:DWORD dst_unused:UNUSED_PAD src0_sel:WORD_1 src1_sel:DWORD
	v_fmac_f16_e32 v19, v108, v8
	v_cvt_f32_f16_e32 v11, v11
	v_cvt_f64_f32_e32 v[9:10], v7
	v_fma_f16 v7, v109, v13, -v12
	v_fmac_f16_e32 v20, v109, v1
	v_mad_u64_u32 v[13:14], null, s10, v57, 0
	v_cvt_f64_f32_e32 v[11:12], v11
	v_cvt_f32_f16_e32 v7, v7
	v_cvt_f32_f16_e32 v21, v20
	v_cvt_f64_f32_e32 v[15:16], v7
	v_cvt_f32_f16_e32 v7, v19
	v_cvt_f64_f32_e32 v[21:22], v21
	v_mov_b32_e32 v1, v14
	v_cvt_f64_f32_e32 v[19:20], v7
	v_mov_b32_e32 v7, v18
	v_mad_u64_u32 v[23:24], null, s11, v57, v[1:2]
	v_mul_f16_sdwa v1, v108, v8 dst_sel:DWORD dst_unused:UNUSED_PAD src0_sel:WORD_1 src1_sel:DWORD
	v_mul_f64 v[9:10], v[9:10], s[6:7]
	v_mad_u64_u32 v[24:25], null, s9, v107, v[7:8]
	v_fma_f16 v1, v108, v26, -v1
	v_mul_f64 v[11:12], v[11:12], s[6:7]
	v_mov_b32_e32 v14, v23
	v_mov_b32_e32 v18, v24
	v_cvt_f32_f16_e32 v1, v1
	v_mul_f64 v[7:8], v[15:16], s[6:7]
	v_lshlrev_b64 v[13:14], 2, v[13:14]
	v_mul_f64 v[15:16], v[19:20], s[6:7]
	v_mul_f64 v[19:20], v[21:22], s[6:7]
	v_and_or_b32 v9, 0x1ff, v10, v9
	v_lshrrev_b32_e32 v21, 8, v10
	v_bfe_u32 v22, v10, 20, 11
	v_lshrrev_b32_e32 v10, 16, v10
	v_and_or_b32 v11, 0x1ff, v12, v11
	v_cmp_ne_u32_e32 vcc_lo, 0, v9
	v_lshrrev_b32_e32 v23, 8, v12
	v_bfe_u32 v24, v12, 20, 11
	v_sub_nc_u32_e32 v25, 0x3f1, v22
	v_add_nc_u32_e32 v22, 0xfffffc10, v22
	v_cndmask_b32_e64 v9, 0, 1, vcc_lo
	v_cmp_ne_u32_e32 vcc_lo, 0, v11
	v_and_or_b32 v7, 0x1ff, v8, v7
	v_sub_nc_u32_e32 v28, 0x3f1, v24
	v_bfe_u32 v27, v8, 20, 11
	v_and_or_b32 v9, 0xffe, v21, v9
	v_cndmask_b32_e64 v11, 0, 1, vcc_lo
	v_cmp_ne_u32_e32 vcc_lo, 0, v7
	v_and_or_b32 v19, 0x1ff, v20, v19
	v_med3_i32 v21, v25, 0, 13
	v_lshl_or_b32 v31, v22, 12, v9
	v_and_or_b32 v11, 0xffe, v23, v11
	v_cndmask_b32_e64 v7, 0, 1, vcc_lo
	v_med3_i32 v23, v28, 0, 13
	v_cmp_ne_u32_e32 vcc_lo, 0, v9
	v_or_b32_e32 v28, 0x1000, v9
	v_or_b32_e32 v33, 0x1000, v11
	v_lshrrev_b32_e32 v26, 8, v8
	v_add_nc_u32_e32 v24, 0xfffffc10, v24
	v_cndmask_b32_e64 v9, 0, 1, vcc_lo
	v_cmp_ne_u32_e32 vcc_lo, 0, v19
	v_lshrrev_b32_e32 v34, v23, v33
	v_sub_nc_u32_e32 v30, 0x3f1, v27
	v_lshrrev_b32_e32 v35, v21, v28
	v_lshrrev_b32_e32 v25, 8, v20
	v_cndmask_b32_e64 v19, 0, 1, vcc_lo
	v_cmp_ne_u32_e32 vcc_lo, 0, v11
	v_lshlrev_b32_e32 v23, v23, v34
	v_bfe_u32 v29, v20, 20, 11
	v_and_or_b32 v26, 0xffe, v26, v7
	v_med3_i32 v7, v30, 0, 13
	v_lshl_or_b32 v30, v24, 12, v11
	v_cndmask_b32_e64 v11, 0, 1, vcc_lo
	v_lshlrev_b32_e32 v21, v21, v35
	v_cmp_ne_u32_e32 vcc_lo, v23, v33
	v_sub_nc_u32_e32 v32, 0x3f1, v29
	v_and_or_b32 v19, 0xffe, v25, v19
	v_add_nc_u32_e32 v29, 0xfffffc10, v29
	v_lshl_or_b32 v11, v11, 9, 0x7c00
	v_cndmask_b32_e64 v23, 0, 1, vcc_lo
	v_cmp_ne_u32_e32 vcc_lo, v21, v28
	v_med3_i32 v25, v32, 0, 13
	v_or_b32_e32 v33, 0x1000, v19
	v_or_b32_e32 v32, 0x1000, v26
	;; [unrolled: 1-line block ×3, first 2 shown]
	v_cndmask_b32_e64 v21, 0, 1, vcc_lo
	v_cmp_gt_i32_e32 vcc_lo, 1, v24
	v_lshrrev_b32_e32 v34, v25, v33
	v_lshl_or_b32 v28, v29, 12, v19
	v_lshrrev_b32_e32 v36, v7, v32
	v_or_b32_e32 v21, v35, v21
	v_cndmask_b32_e32 v23, v30, v23, vcc_lo
	v_cmp_gt_i32_e32 vcc_lo, 1, v22
	v_lshlrev_b32_e32 v25, v25, v34
	v_lshlrev_b32_e32 v7, v7, v36
	v_lshrrev_b32_e32 v12, 16, v12
	v_and_b32_e32 v30, 7, v23
	v_cndmask_b32_e32 v21, v31, v21, vcc_lo
	v_cmp_ne_u32_e32 vcc_lo, v25, v33
	v_lshrrev_b32_e32 v23, 2, v23
	v_lshl_or_b32 v9, v9, 9, 0x7c00
	v_cmp_eq_u32_e64 s0, 3, v30
	v_and_b32_e32 v31, 7, v21
	v_cndmask_b32_e64 v25, 0, 1, vcc_lo
	v_cmp_lt_i32_e32 vcc_lo, 5, v30
	v_lshrrev_b32_e32 v21, 2, v21
	v_add_nc_u32_e32 v27, 0xfffffc10, v27
	v_cmp_lt_i32_e64 s1, 5, v31
	v_cmp_eq_u32_e64 s2, 3, v31
	s_or_b32 vcc_lo, s0, vcc_lo
	v_or_b32_e32 v25, v34, v25
	v_add_co_ci_u32_e32 v23, vcc_lo, 0, v23, vcc_lo
	s_or_b32 vcc_lo, s2, s1
	v_cmp_gt_i32_e64 s1, 1, v27
	v_add_co_ci_u32_e32 v21, vcc_lo, 0, v21, vcc_lo
	v_cmp_gt_i32_e32 vcc_lo, 31, v24
	v_lshrrev_b32_e32 v8, 16, v8
	v_lshrrev_b32_e32 v20, 16, v20
	s_mul_i32 s2, s9, 0xa90
	v_cndmask_b32_e32 v23, 0x7c00, v23, vcc_lo
	v_cmp_gt_i32_e32 vcc_lo, 1, v29
	v_cndmask_b32_e32 v25, v28, v25, vcc_lo
	v_cmp_gt_i32_e32 vcc_lo, 31, v22
	v_cndmask_b32_e32 v21, 0x7c00, v21, vcc_lo
	v_cmp_eq_u32_e32 vcc_lo, 0x40f, v24
	v_cndmask_b32_e32 v11, v23, v11, vcc_lo
	v_cmp_ne_u32_e32 vcc_lo, v7, v32
	v_and_b32_e32 v23, 7, v25
	v_and_or_b32 v11, 0x8000, v12, v11
	v_cndmask_b32_e64 v7, 0, 1, vcc_lo
	v_cmp_eq_u32_e32 vcc_lo, 0x40f, v22
	v_cmp_eq_u32_e64 s0, 3, v23
	v_lshl_or_b32 v12, v27, 12, v26
	v_or_b32_e32 v7, v36, v7
	v_cndmask_b32_e32 v9, v21, v9, vcc_lo
	v_cmp_lt_i32_e32 vcc_lo, 5, v23
	v_bfe_u32 v23, v16, 20, 11
	v_cndmask_b32_e64 v21, v12, v7, s1
	v_and_or_b32 v9, 0x8000, v10, v9
	v_and_b32_e32 v10, 0xffff, v11
	v_lshrrev_b32_e32 v11, 2, v25
	s_or_b32 vcc_lo, s0, vcc_lo
	v_cmp_eq_u32_e64 s1, 0x40f, v29
	v_lshl_or_b32 v22, v9, 16, v10
	v_add_co_ci_u32_e32 v11, vcc_lo, 0, v11, vcc_lo
	v_cmp_ne_u32_e32 vcc_lo, 0, v19
	v_cvt_f64_f32_e32 v[9:10], v1
	v_and_b32_e32 v19, 7, v21
	v_cndmask_b32_e64 v12, 0, 1, vcc_lo
	v_add_co_u32 v1, vcc_lo, s4, v13
	v_add_co_ci_u32_e32 v7, vcc_lo, s5, v14, vcc_lo
	v_cmp_gt_i32_e32 vcc_lo, 31, v29
	v_cmp_eq_u32_e64 s0, 3, v19
	v_lshl_or_b32 v14, v12, 9, 0x7c00
	s_mul_i32 s5, s8, 0xfffff640
	v_cndmask_b32_e32 v13, 0x7c00, v11, vcc_lo
	v_cmp_lt_i32_e32 vcc_lo, 5, v19
	v_lshlrev_b64 v[11:12], 2, v[17:18]
	v_lshrrev_b32_e32 v17, 2, v21
	v_lshrrev_b32_e32 v21, 8, v16
	v_cndmask_b32_e64 v18, v13, v14, s1
	s_or_b32 vcc_lo, s0, vcc_lo
	v_and_or_b32 v13, 0x1ff, v16, v15
	v_add_co_ci_u32_e32 v17, vcc_lo, 0, v17, vcc_lo
	v_cmp_ne_u32_e32 vcc_lo, 0, v26
	v_mul_f64 v[9:10], v[9:10], s[6:7]
	v_add_nc_u32_e32 v14, 0xa00, v82
	v_and_or_b32 v18, 0x8000, v20, v18
	v_cndmask_b32_e64 v15, 0, 1, vcc_lo
	v_cmp_ne_u32_e32 vcc_lo, 0, v13
	ds_read2_b32 v[13:14], v14 offset0:88 offset1:140
	v_and_b32_e32 v18, 0xffff, v18
	v_lshl_or_b32 v15, v15, 9, 0x7c00
	v_cndmask_b32_e64 v19, 0, 1, vcc_lo
	v_cmp_gt_i32_e32 vcc_lo, 31, v27
	v_and_or_b32 v19, 0xffe, v21, v19
	v_cndmask_b32_e32 v17, 0x7c00, v17, vcc_lo
	v_sub_nc_u32_e32 v21, 0x3f1, v23
	v_cmp_eq_u32_e32 vcc_lo, 0x40f, v27
	v_add_nc_u32_e32 v23, 0xfffffc10, v23
	v_med3_i32 v21, v21, 0, 13
	v_cndmask_b32_e32 v15, v17, v15, vcc_lo
	v_or_b32_e32 v17, 0x1000, v19
	v_and_or_b32 v9, 0x1ff, v10, v9
	v_add_co_u32 v11, vcc_lo, v1, v11
	v_add_co_ci_u32_e32 v12, vcc_lo, v7, v12, vcc_lo
	v_lshrrev_b32_e32 v24, v21, v17
	v_and_or_b32 v15, 0x8000, v8, v15
	v_cmp_ne_u32_e32 vcc_lo, 0, v9
	s_waitcnt lgkmcnt(0)
	v_lshrrev_b32_e32 v20, 16, v13
	v_bfe_u32 v26, v10, 20, 11
	v_lshlrev_b32_e32 v8, v21, v24
	v_lshrrev_b32_e32 v21, 8, v10
	v_cndmask_b32_e64 v9, 0, 1, vcc_lo
	v_mul_f16_sdwa v25, v106, v20 dst_sel:DWORD dst_unused:UNUSED_PAD src0_sel:WORD_1 src1_sel:DWORD
	global_store_dword v[11:12], v22, off
	v_cmp_ne_u32_e32 vcc_lo, v8, v17
	v_lshl_or_b32 v17, v23, 12, v19
	v_and_or_b32 v21, 0xffe, v21, v9
	v_fmac_f16_e32 v25, v106, v13
	v_sub_nc_u32_e32 v9, 0x3f1, v26
	v_cndmask_b32_e64 v8, 0, 1, vcc_lo
	v_cmp_gt_i32_e32 vcc_lo, 1, v23
	v_lshl_or_b32 v22, v15, 16, v18
	v_mul_f16_sdwa v13, v106, v13 dst_sel:DWORD dst_unused:UNUSED_PAD src0_sel:WORD_1 src1_sel:DWORD
	v_med3_i32 v27, v9, 0, 13
	v_or_b32_e32 v8, v24, v8
	v_cvt_f32_f16_e32 v24, v25
	v_or_b32_e32 v25, 0x1000, v21
	v_fma_f16 v13, v106, v20, -v13
	v_cndmask_b32_e32 v17, v17, v8, vcc_lo
	v_cvt_f64_f32_e32 v[8:9], v24
	v_lshrrev_b32_e32 v24, v27, v25
	v_cvt_f32_f16_e32 v13, v13
	v_and_b32_e32 v28, 7, v17
	v_lshrrev_b32_e32 v17, 2, v17
	v_lshlrev_b32_e32 v15, v27, v24
	v_cmp_lt_i32_e32 vcc_lo, 5, v28
	v_cmp_eq_u32_e64 s0, 3, v28
	v_cmp_ne_u32_e64 s1, v15, v25
	v_add_nc_u32_e32 v25, 0xfffffc10, v26
	s_or_b32 vcc_lo, s0, vcc_lo
	v_cndmask_b32_e64 v15, 0, 1, s1
	v_add_co_ci_u32_e32 v17, vcc_lo, 0, v17, vcc_lo
	v_cmp_ne_u32_e32 vcc_lo, 0, v19
	v_lshl_or_b32 v18, v25, 12, v21
	v_or_b32_e32 v15, v24, v15
	v_mul_f64 v[8:9], v[8:9], s[6:7]
	s_mul_hi_u32 s0, s8, 0xa90
	v_cndmask_b32_e64 v19, 0, 1, vcc_lo
	v_cmp_gt_i32_e32 vcc_lo, 1, v25
	s_add_i32 s2, s0, s2
	s_mul_hi_u32 s1, s8, 0xfffff640
	v_lshl_or_b32 v19, v19, 9, 0x7c00
	v_cndmask_b32_e32 v20, v18, v15, vcc_lo
	v_cmp_gt_i32_e32 vcc_lo, 31, v23
	s_sub_i32 s4, s1, s8
	v_cndmask_b32_e32 v15, 0x7c00, v17, vcc_lo
	v_cvt_f64_f32_e32 v[17:18], v13
	v_and_b32_e32 v13, 7, v20
	v_cmp_eq_u32_e32 vcc_lo, 0x40f, v23
	v_lshrrev_b32_e32 v23, 16, v16
	v_cmp_eq_u32_e64 s0, 3, v13
	v_cndmask_b32_e32 v19, v15, v19, vcc_lo
	v_cmp_lt_i32_e32 vcc_lo, 5, v13
	v_lshrrev_b32_e32 v13, 2, v20
	ds_read2_b32 v[15:16], v82 offset0:104 offset1:156
	v_and_or_b32 v8, 0x1ff, v9, v8
	v_and_or_b32 v19, 0x8000, v23, v19
	s_or_b32 vcc_lo, s0, vcc_lo
	v_bfe_u32 v23, v9, 20, 11
	v_add_co_ci_u32_e32 v13, vcc_lo, 0, v13, vcc_lo
	v_cmp_ne_u32_e32 vcc_lo, 0, v21
	v_lshrrev_b32_e32 v21, 8, v9
	s_mul_i32 s0, s9, 0xfffff640
	s_add_i32 s4, s4, s0
	v_mul_f64 v[17:18], v[17:18], s[6:7]
	v_cndmask_b32_e64 v20, 0, 1, vcc_lo
	v_cmp_ne_u32_e32 vcc_lo, 0, v8
	v_lshl_or_b32 v20, v20, 9, 0x7c00
	v_cndmask_b32_e64 v8, 0, 1, vcc_lo
	v_cmp_gt_i32_e32 vcc_lo, 31, v25
	s_waitcnt lgkmcnt(0)
	v_lshrrev_b32_e32 v24, 16, v15
	v_and_or_b32 v8, 0xffe, v21, v8
	v_cndmask_b32_e32 v13, 0x7c00, v13, vcc_lo
	v_cmp_eq_u32_e32 vcc_lo, 0x40f, v25
	v_sub_nc_u32_e32 v21, 0x3f1, v23
	v_mul_f16_sdwa v26, v105, v24 dst_sel:DWORD dst_unused:UNUSED_PAD src0_sel:WORD_1 src1_sel:DWORD
	v_or_b32_e32 v25, 0x1000, v8
	v_add_nc_u32_e32 v23, 0xfffffc10, v23
	v_cndmask_b32_e32 v13, v13, v20, vcc_lo
	v_lshrrev_b32_e32 v20, 16, v10
	v_med3_i32 v21, v21, 0, 13
	v_add_co_u32 v10, vcc_lo, v11, s3
	v_add_co_ci_u32_e32 v11, vcc_lo, s2, v12, vcc_lo
	v_and_or_b32 v12, 0x8000, v20, v13
	v_and_b32_e32 v13, 0xffff, v19
	v_fmac_f16_e32 v26, v105, v15
	v_lshrrev_b32_e32 v19, v21, v25
	v_and_or_b32 v17, 0x1ff, v18, v17
	global_store_dword v[10:11], v22, off
	v_lshl_or_b32 v22, v12, 16, v13
	v_cvt_f32_f16_e32 v12, v26
	v_lshlrev_b32_e32 v20, v21, v19
	v_cmp_ne_u32_e32 vcc_lo, 0, v17
	v_lshrrev_b32_e32 v21, 8, v18
	v_bfe_u32 v26, v18, 20, 11
	v_cvt_f64_f32_e32 v[12:13], v12
	v_mul_f16_sdwa v15, v105, v15 dst_sel:DWORD dst_unused:UNUSED_PAD src0_sel:WORD_1 src1_sel:DWORD
	v_cndmask_b32_e64 v17, 0, 1, vcc_lo
	v_cmp_ne_u32_e32 vcc_lo, v20, v25
	v_lshrrev_b32_e32 v18, 16, v18
	v_fma_f16 v15, v105, v24, -v15
	v_and_or_b32 v17, 0xffe, v21, v17
	v_cndmask_b32_e64 v20, 0, 1, vcc_lo
	v_sub_nc_u32_e32 v21, 0x3f1, v26
	v_cmp_gt_i32_e32 vcc_lo, 1, v23
	v_cvt_f32_f16_e32 v15, v15
	v_or_b32_e32 v25, 0x1000, v17
	v_or_b32_e32 v19, v19, v20
	v_lshl_or_b32 v20, v23, 12, v8
	v_med3_i32 v21, v21, 0, 13
	v_add_nc_u32_e32 v24, 0xfffffc10, v26
	v_cndmask_b32_e32 v27, v20, v19, vcc_lo
	v_lshrrev_b32_e32 v28, v21, v25
	v_mul_f64 v[12:13], v[12:13], s[6:7]
	v_and_b32_e32 v19, 7, v27
	v_lshlrev_b32_e32 v20, v21, v28
	v_cmp_lt_i32_e32 vcc_lo, 5, v19
	v_cmp_eq_u32_e64 s0, 3, v19
	v_cmp_ne_u32_e64 s1, v20, v25
	v_cvt_f64_f32_e32 v[19:20], v15
	v_lshrrev_b32_e32 v15, 2, v27
	v_lshl_or_b32 v25, v24, 12, v17
	s_or_b32 vcc_lo, s0, vcc_lo
	v_cndmask_b32_e64 v21, 0, 1, s1
	v_add_co_u32 v10, s1, v10, s5
	v_add_co_ci_u32_e32 v15, vcc_lo, 0, v15, vcc_lo
	v_cmp_ne_u32_e32 vcc_lo, 0, v8
	v_or_b32_e32 v21, v28, v21
	v_lshrrev_b32_e32 v28, 16, v9
	v_and_or_b32 v12, 0x1ff, v13, v12
	v_lshrrev_b32_e32 v26, 8, v13
	v_cndmask_b32_e64 v8, 0, 1, vcc_lo
	v_cmp_gt_i32_e32 vcc_lo, 1, v24
	v_bfe_u32 v27, v13, 20, 11
	v_add_co_ci_u32_e64 v11, s1, s4, v11, s1
	v_lshl_or_b32 v8, v8, 9, 0x7c00
	v_cndmask_b32_e32 v21, v25, v21, vcc_lo
	v_cmp_gt_i32_e32 vcc_lo, 31, v23
	v_mul_f64 v[19:20], v[19:20], s[6:7]
	global_store_dword v[10:11], v22, off
	v_and_b32_e32 v25, 7, v21
	v_cndmask_b32_e32 v15, 0x7c00, v15, vcc_lo
	v_cmp_ne_u32_e32 vcc_lo, 0, v12
	v_lshrrev_b32_e32 v21, 2, v21
	v_cmp_eq_u32_e64 s0, 3, v25
	v_cndmask_b32_e64 v12, 0, 1, vcc_lo
	v_cmp_eq_u32_e32 vcc_lo, 0x40f, v23
	v_and_or_b32 v12, 0xffe, v26, v12
	v_cndmask_b32_e32 v15, v15, v8, vcc_lo
	v_sub_nc_u32_e32 v8, 0x3f1, v27
	v_cmp_lt_i32_e32 vcc_lo, 5, v25
	v_lshrrev_b32_e32 v25, 16, v14
	v_or_b32_e32 v23, 0x1000, v12
	v_add_nc_u32_e32 v27, 0xfffffc10, v27
	v_med3_i32 v8, v8, 0, 13
	s_or_b32 vcc_lo, s0, vcc_lo
	v_mul_f16_sdwa v9, v104, v25 dst_sel:DWORD dst_unused:UNUSED_PAD src0_sel:WORD_1 src1_sel:DWORD
	v_add_co_ci_u32_e32 v21, vcc_lo, 0, v21, vcc_lo
	v_lshrrev_b32_e32 v26, v8, v23
	v_cmp_gt_i32_e32 vcc_lo, 31, v24
	v_and_or_b32 v19, 0x1ff, v20, v19
	v_fmac_f16_e32 v9, v104, v14
	v_lshrrev_b32_e32 v29, 8, v20
	v_lshlrev_b32_e32 v8, v8, v26
	v_cndmask_b32_e32 v21, 0x7c00, v21, vcc_lo
	v_cmp_ne_u32_e32 vcc_lo, 0, v17
	v_bfe_u32 v30, v20, 20, 11
	v_and_or_b32 v15, 0x8000, v28, v15
	v_mul_f16_sdwa v14, v104, v14 dst_sel:DWORD dst_unused:UNUSED_PAD src0_sel:WORD_1 src1_sel:DWORD
	v_lshrrev_b32_e32 v20, 16, v20
	v_cndmask_b32_e64 v17, 0, 1, vcc_lo
	v_cmp_ne_u32_e32 vcc_lo, v8, v23
	v_cvt_f32_f16_e32 v8, v9
	v_add_nc_u32_e32 v22, 0xfffffc10, v30
	v_fma_f16 v14, v104, v25, -v14
	v_lshl_or_b32 v17, v17, 9, 0x7c00
	v_cndmask_b32_e64 v23, 0, 1, vcc_lo
	v_cmp_ne_u32_e32 vcc_lo, 0, v19
	v_cvt_f64_f32_e32 v[8:9], v8
	v_cvt_f32_f16_e32 v14, v14
	v_or_b32_e32 v23, v26, v23
	v_cndmask_b32_e64 v19, 0, 1, vcc_lo
	v_lshl_or_b32 v26, v27, 12, v12
	v_cmp_gt_i32_e32 vcc_lo, 1, v27
	v_and_or_b32 v19, 0xffe, v29, v19
	v_sub_nc_u32_e32 v29, 0x3f1, v30
	v_cndmask_b32_e32 v23, v26, v23, vcc_lo
	v_cmp_eq_u32_e32 vcc_lo, 0x40f, v24
	v_or_b32_e32 v26, 0x1000, v19
	v_med3_i32 v29, v29, 0, 13
	v_cndmask_b32_e32 v17, v21, v17, vcc_lo
	v_and_b32_e32 v21, 7, v23
	v_lshrrev_b32_e32 v24, v29, v26
	v_and_or_b32 v17, 0x8000, v18, v17
	v_and_b32_e32 v18, 0xffff, v15
	v_cmp_lt_i32_e32 vcc_lo, 5, v21
	v_lshlrev_b32_e32 v15, v29, v24
	v_cmp_eq_u32_e64 s0, 3, v21
	v_lshrrev_b32_e32 v21, 2, v23
	v_mul_f64 v[8:9], v[8:9], s[6:7]
	v_lshl_or_b32 v23, v22, 12, v19
	v_cmp_ne_u32_e64 s1, v15, v26
	s_or_b32 vcc_lo, s0, vcc_lo
	v_lshl_or_b32 v18, v17, 16, v18
	v_add_co_ci_u32_e32 v21, vcc_lo, 0, v21, vcc_lo
	v_cndmask_b32_e64 v15, 0, 1, s1
	v_cmp_ne_u32_e32 vcc_lo, 0, v12
	v_or_b32_e32 v15, v24, v15
	v_cndmask_b32_e64 v12, 0, 1, vcc_lo
	v_cmp_gt_i32_e32 vcc_lo, 1, v22
	v_lshl_or_b32 v12, v12, 9, 0x7c00
	v_cndmask_b32_e32 v23, v23, v15, vcc_lo
	v_cvt_f64_f32_e32 v[14:15], v14
	v_cmp_gt_i32_e32 vcc_lo, 31, v27
	v_and_or_b32 v8, 0x1ff, v9, v8
	v_and_b32_e32 v24, 7, v23
	v_cndmask_b32_e32 v21, 0x7c00, v21, vcc_lo
	v_cmp_eq_u32_e32 vcc_lo, 0x40f, v27
	v_cmp_ne_u32_e64 s1, 0, v8
	v_cmp_eq_u32_e64 s0, 3, v24
	v_lshrrev_b32_e32 v27, 16, v13
	v_cndmask_b32_e32 v17, v21, v12, vcc_lo
	v_cmp_lt_i32_e32 vcc_lo, 5, v24
	v_lshrrev_b32_e32 v12, 2, v23
	v_cndmask_b32_e64 v8, 0, 1, s1
	v_lshrrev_b32_e32 v21, 8, v9
	v_bfe_u32 v23, v9, 20, 11
	s_or_b32 vcc_lo, s0, vcc_lo
	v_lshrrev_b32_e32 v24, 16, v16
	v_add_co_ci_u32_e32 v12, vcc_lo, 0, v12, vcc_lo
	v_mul_f64 v[14:15], v[14:15], s[6:7]
	v_and_or_b32 v8, 0xffe, v21, v8
	v_sub_nc_u32_e32 v21, 0x3f1, v23
	v_cmp_ne_u32_e32 vcc_lo, 0, v19
	v_mul_f16_sdwa v25, v103, v24 dst_sel:DWORD dst_unused:UNUSED_PAD src0_sel:WORD_1 src1_sel:DWORD
	v_and_or_b32 v17, 0x8000, v27, v17
	v_or_b32_e32 v26, 0x1000, v8
	v_med3_i32 v21, v21, 0, 13
	v_cndmask_b32_e64 v19, 0, 1, vcc_lo
	v_cmp_gt_i32_e32 vcc_lo, 31, v22
	v_fmac_f16_e32 v25, v103, v16
	v_and_b32_e32 v17, 0xffff, v17
	v_lshrrev_b32_e32 v28, v21, v26
	v_lshl_or_b32 v19, v19, 9, 0x7c00
	v_cndmask_b32_e32 v12, 0x7c00, v12, vcc_lo
	v_cmp_eq_u32_e32 vcc_lo, 0x40f, v22
	v_cvt_f32_f16_e32 v13, v25
	v_lshlrev_b32_e32 v21, v21, v28
	v_cndmask_b32_e32 v19, v12, v19, vcc_lo
	v_add_co_u32 v10, vcc_lo, v10, s3
	v_add_co_ci_u32_e32 v11, vcc_lo, s2, v11, vcc_lo
	v_and_or_b32 v14, 0x1ff, v15, v14
	v_cmp_ne_u32_e32 vcc_lo, v21, v26
	v_cvt_f64_f32_e32 v[12:13], v13
	v_and_or_b32 v19, 0x8000, v20, v19
	v_add_nc_u32_e32 v21, 0xfffffc10, v23
	v_lshrrev_b32_e32 v22, 8, v15
	v_cndmask_b32_e64 v20, 0, 1, vcc_lo
	v_cmp_ne_u32_e32 vcc_lo, 0, v14
	v_bfe_u32 v23, v15, 20, 11
	v_lshl_or_b32 v25, v21, 12, v8
	v_mul_f16_sdwa v26, v103, v16 dst_sel:DWORD dst_unused:UNUSED_PAD src0_sel:WORD_1 src1_sel:DWORD
	v_or_b32_e32 v20, v28, v20
	v_cndmask_b32_e64 v14, 0, 1, vcc_lo
	v_cmp_gt_i32_e32 vcc_lo, 1, v21
	v_lshl_or_b32 v19, v19, 16, v17
	v_fma_f16 v24, v103, v24, -v26
	v_lshrrev_b32_e32 v15, 16, v15
	v_and_or_b32 v14, 0xffe, v22, v14
	v_sub_nc_u32_e32 v22, 0x3f1, v23
	v_cndmask_b32_e32 v20, v25, v20, vcc_lo
	v_add_co_u32 v16, vcc_lo, v10, s5
	v_or_b32_e32 v25, 0x1000, v14
	v_med3_i32 v22, v22, 0, 13
	v_mul_f64 v[12:13], v[12:13], s[6:7]
	v_add_co_ci_u32_e32 v17, vcc_lo, s4, v11, vcc_lo
	v_and_b32_e32 v28, 7, v20
	v_lshrrev_b32_e32 v27, v22, v25
	global_store_dword v[10:11], v18, off
	global_store_dword v[16:17], v19, off
	v_lshrrev_b32_e32 v18, 2, v20
	v_cvt_f32_f16_e32 v11, v24
	v_cmp_lt_i32_e32 vcc_lo, 5, v28
	v_lshlrev_b32_e32 v10, v22, v27
	v_cmp_eq_u32_e64 s0, 3, v28
	v_add_nc_u32_e32 v20, 0xfffffc10, v23
	v_cmp_ne_u32_e64 s1, v10, v25
	s_or_b32 vcc_lo, s0, vcc_lo
	v_cvt_f64_f32_e32 v[10:11], v11
	v_add_co_ci_u32_e32 v18, vcc_lo, 0, v18, vcc_lo
	v_cndmask_b32_e64 v19, 0, 1, s1
	v_cmp_gt_i32_e32 vcc_lo, 31, v21
	v_lshl_or_b32 v22, v20, 12, v14
	v_and_or_b32 v12, 0x1ff, v13, v12
	v_lshrrev_b32_e32 v24, 8, v13
	v_or_b32_e32 v19, v27, v19
	v_cndmask_b32_e32 v23, 0x7c00, v18, vcc_lo
	v_cmp_gt_i32_e32 vcc_lo, 1, v20
	v_bfe_u32 v25, v13, 20, 11
	v_cmp_eq_u32_e64 s1, 0x40f, v21
	v_cndmask_b32_e32 v22, v22, v19, vcc_lo
	v_cmp_ne_u32_e32 vcc_lo, 0, v12
	ds_read2_b32 v[18:19], v5 offset0:64 offset1:116
	v_and_b32_e32 v26, 7, v22
	v_cndmask_b32_e64 v12, 0, 1, vcc_lo
	v_cmp_ne_u32_e32 vcc_lo, 0, v8
	v_mul_f64 v[10:11], v[10:11], s[6:7]
	v_cmp_eq_u32_e64 s0, 3, v26
	v_and_or_b32 v12, 0xffe, v24, v12
	v_cndmask_b32_e64 v8, 0, 1, vcc_lo
	v_sub_nc_u32_e32 v24, 0x3f1, v25
	v_cmp_lt_i32_e32 vcc_lo, 5, v26
	v_add_nc_u32_e32 v25, 0xfffffc10, v25
	v_or_b32_e32 v26, 0x1000, v12
	v_lshl_or_b32 v8, v8, 9, 0x7c00
	v_med3_i32 v24, v24, 0, 13
	s_or_b32 vcc_lo, s0, vcc_lo
	v_lshl_or_b32 v29, v25, 12, v12
	v_cndmask_b32_e64 v21, v23, v8, s1
	v_lshrrev_b32_e32 v8, 2, v22
	v_lshrrev_b32_e32 v22, 16, v9
	;; [unrolled: 1-line block ×3, first 2 shown]
	s_waitcnt lgkmcnt(0)
	v_lshrrev_b32_e32 v23, 16, v18
	v_add_co_ci_u32_e32 v8, vcc_lo, 0, v8, vcc_lo
	v_cmp_ne_u32_e32 vcc_lo, 0, v14
	v_lshlrev_b32_e32 v24, v24, v9
	v_and_or_b32 v10, 0x1ff, v11, v10
	v_bfe_u32 v28, v11, 20, 11
	v_and_or_b32 v21, 0x8000, v22, v21
	v_cndmask_b32_e64 v14, 0, 1, vcc_lo
	v_cmp_gt_i32_e32 vcc_lo, 31, v20
	v_and_b32_e32 v21, 0xffff, v21
	v_lshl_or_b32 v14, v14, 9, 0x7c00
	v_cndmask_b32_e32 v27, 0x7c00, v8, vcc_lo
	v_cmp_ne_u32_e32 vcc_lo, v24, v26
	v_mul_f16_sdwa v8, v102, v23 dst_sel:DWORD dst_unused:UNUSED_PAD src0_sel:WORD_1 src1_sel:DWORD
	v_lshrrev_b32_e32 v26, 8, v11
	v_cndmask_b32_e64 v24, 0, 1, vcc_lo
	v_cmp_ne_u32_e32 vcc_lo, 0, v10
	v_fmac_f16_e32 v8, v102, v18
	v_mul_f16_sdwa v18, v102, v18 dst_sel:DWORD dst_unused:UNUSED_PAD src0_sel:WORD_1 src1_sel:DWORD
	v_or_b32_e32 v24, v9, v24
	v_cndmask_b32_e64 v10, 0, 1, vcc_lo
	v_cmp_eq_u32_e32 vcc_lo, 0x40f, v20
	v_cvt_f32_f16_e32 v8, v8
	v_and_or_b32 v10, 0xffe, v26, v10
	v_cndmask_b32_e32 v14, v27, v14, vcc_lo
	v_cmp_gt_i32_e32 vcc_lo, 1, v25
	v_sub_nc_u32_e32 v26, 0x3f1, v28
	v_cvt_f64_f32_e32 v[8:9], v8
	v_or_b32_e32 v20, 0x1000, v10
	v_cndmask_b32_e32 v24, v29, v24, vcc_lo
	v_med3_i32 v26, v26, 0, 13
	v_and_or_b32 v29, 0x8000, v15, v14
	v_fma_f16 v14, v102, v23, -v18
	v_add_nc_u32_e32 v23, 0xfffffc10, v28
	v_and_b32_e32 v27, 7, v24
	v_lshrrev_b32_e32 v22, v26, v20
	v_lshrrev_b32_e32 v18, 2, v24
	v_cvt_f32_f16_e32 v14, v14
	v_lshl_or_b32 v21, v29, 16, v21
	v_cmp_lt_i32_e32 vcc_lo, 5, v27
	v_cmp_eq_u32_e64 s0, 3, v27
	v_lshlrev_b32_e32 v15, v26, v22
	s_or_b32 vcc_lo, s0, vcc_lo
	v_cmp_ne_u32_e64 s1, v15, v20
	v_cvt_f64_f32_e32 v[14:15], v14
	v_add_co_ci_u32_e32 v18, vcc_lo, 0, v18, vcc_lo
	v_cmp_ne_u32_e32 vcc_lo, 0, v12
	v_mul_f64 v[8:9], v[8:9], s[6:7]
	v_cndmask_b32_e64 v20, 0, 1, s1
	v_cndmask_b32_e64 v12, 0, 1, vcc_lo
	v_cmp_gt_i32_e32 vcc_lo, 31, v25
	v_or_b32_e32 v20, v22, v20
	v_lshl_or_b32 v22, v23, 12, v10
	v_lshl_or_b32 v12, v12, 9, 0x7c00
	v_cndmask_b32_e32 v18, 0x7c00, v18, vcc_lo
	v_cmp_gt_i32_e32 vcc_lo, 1, v23
	v_cndmask_b32_e32 v20, v22, v20, vcc_lo
	v_cmp_eq_u32_e32 vcc_lo, 0x40f, v25
	v_mul_f64 v[14:15], v[14:15], s[6:7]
	v_lshrrev_b32_e32 v22, 16, v13
	v_and_b32_e32 v24, 7, v20
	v_cndmask_b32_e32 v18, v18, v12, vcc_lo
	v_add_co_u32 v12, vcc_lo, v16, s3
	v_and_or_b32 v8, 0x1ff, v9, v8
	v_add_co_ci_u32_e32 v13, vcc_lo, s2, v17, vcc_lo
	v_cmp_lt_i32_e32 vcc_lo, 5, v24
	v_cmp_eq_u32_e64 s0, 3, v24
	v_lshrrev_b32_e32 v20, 2, v20
	v_cmp_ne_u32_e64 s1, 0, v8
	ds_read2_b32 v[16:17], v6 offset0:80 offset1:132
	v_and_or_b32 v18, 0x8000, v22, v18
	s_or_b32 vcc_lo, s0, vcc_lo
	v_lshrrev_b32_e32 v22, 8, v9
	v_add_co_ci_u32_e32 v6, vcc_lo, 0, v20, vcc_lo
	v_cndmask_b32_e64 v8, 0, 1, s1
	v_bfe_u32 v24, v9, 20, 11
	v_cmp_ne_u32_e32 vcc_lo, 0, v10
	v_and_or_b32 v14, 0x1ff, v15, v14
	v_bfe_u32 v25, v15, 20, 11
	v_and_or_b32 v8, 0xffe, v22, v8
	v_sub_nc_u32_e32 v20, 0x3f1, v24
	v_cndmask_b32_e64 v10, 0, 1, vcc_lo
	v_cmp_gt_i32_e32 vcc_lo, 31, v23
	v_and_b32_e32 v18, 0xffff, v18
	v_or_b32_e32 v22, 0x1000, v8
	v_med3_i32 v20, v20, 0, 13
	v_lshl_or_b32 v10, v10, 9, 0x7c00
	v_cndmask_b32_e32 v6, 0x7c00, v6, vcc_lo
	v_cmp_eq_u32_e32 vcc_lo, 0x40f, v23
	v_lshrrev_b32_e32 v23, 8, v15
	s_waitcnt lgkmcnt(0)
	v_lshrrev_b32_e32 v26, 16, v16
	global_store_dword v[12:13], v21, off
	v_lshrrev_b32_e32 v15, 16, v15
	v_cndmask_b32_e32 v6, v6, v10, vcc_lo
	v_lshrrev_b32_e32 v10, 16, v11
	v_lshrrev_b32_e32 v11, v20, v22
	v_cmp_ne_u32_e32 vcc_lo, 0, v14
	v_and_or_b32 v6, 0x8000, v10, v6
	v_lshlrev_b32_e32 v20, v20, v11
	v_cndmask_b32_e64 v14, 0, 1, vcc_lo
	v_sub_nc_u32_e32 v10, 0x3f1, v25
	v_lshl_or_b32 v6, v6, 16, v18
	v_cmp_ne_u32_e32 vcc_lo, v20, v22
	v_and_or_b32 v14, 0xffe, v23, v14
	v_mul_f16_sdwa v23, v101, v26 dst_sel:DWORD dst_unused:UNUSED_PAD src0_sel:WORD_1 src1_sel:DWORD
	v_add_nc_u32_e32 v22, 0xfffffc10, v24
	v_med3_i32 v27, v10, 0, 13
	v_cndmask_b32_e64 v20, 0, 1, vcc_lo
	v_or_b32_e32 v24, 0x1000, v14
	v_fmac_f16_e32 v23, v101, v16
	v_cmp_gt_i32_e32 vcc_lo, 1, v22
	v_mul_f16_sdwa v16, v101, v16 dst_sel:DWORD dst_unused:UNUSED_PAD src0_sel:WORD_1 src1_sel:DWORD
	v_or_b32_e32 v10, v11, v20
	v_lshl_or_b32 v11, v22, 12, v8
	v_cvt_f32_f16_e32 v20, v23
	v_lshrrev_b32_e32 v23, v27, v24
	v_fma_f16 v16, v101, v26, -v16
	v_cndmask_b32_e32 v28, v11, v10, vcc_lo
	v_cvt_f64_f32_e32 v[10:11], v20
	v_lshlrev_b32_e32 v20, v27, v23
	v_cvt_f32_f16_e32 v16, v16
	v_and_b32_e32 v18, 7, v28
	v_cmp_ne_u32_e32 vcc_lo, v20, v24
	v_add_nc_u32_e32 v24, 0xfffffc10, v25
	v_cmp_eq_u32_e64 s0, 3, v18
	v_cndmask_b32_e64 v20, 0, 1, vcc_lo
	v_add_co_u32 v12, vcc_lo, v12, s5
	v_add_co_ci_u32_e32 v13, vcc_lo, s4, v13, vcc_lo
	v_cmp_lt_i32_e32 vcc_lo, 5, v18
	v_or_b32_e32 v23, v23, v20
	v_cvt_f64_f32_e32 v[20:21], v16
	v_lshrrev_b32_e32 v16, 2, v28
	v_lshl_or_b32 v25, v24, 12, v14
	v_cmp_gt_i32_e64 s1, 1, v24
	s_or_b32 vcc_lo, s0, vcc_lo
	v_mul_f64 v[10:11], v[10:11], s[6:7]
	v_add_co_ci_u32_e32 v16, vcc_lo, 0, v16, vcc_lo
	v_cndmask_b32_e64 v18, v25, v23, s1
	v_cmp_ne_u32_e32 vcc_lo, 0, v8
	global_store_dword v[12:13], v6, off
	v_cmp_eq_u32_e64 s1, 0x40f, v22
	v_and_b32_e32 v23, 7, v18
	v_cndmask_b32_e64 v8, 0, 1, vcc_lo
	v_cmp_gt_i32_e32 vcc_lo, 31, v22
	v_cmp_eq_u32_e64 s0, 3, v23
	v_lshl_or_b32 v8, v8, 9, 0x7c00
	v_cndmask_b32_e32 v6, 0x7c00, v16, vcc_lo
	v_cmp_lt_i32_e32 vcc_lo, 5, v23
	v_lshrrev_b32_e32 v16, 2, v18
	v_mul_f64 v[20:21], v[20:21], s[6:7]
	v_cndmask_b32_e64 v6, v6, v8, s1
	s_or_b32 vcc_lo, s0, vcc_lo
	v_and_or_b32 v10, 0x1ff, v11, v10
	v_add_co_ci_u32_e32 v8, vcc_lo, 0, v16, vcc_lo
	v_cmp_ne_u32_e32 vcc_lo, 0, v14
	v_lshrrev_b32_e32 v22, 8, v11
	v_bfe_u32 v23, v11, 20, 11
	v_lshrrev_b32_e32 v16, 16, v9
	v_lshrrev_b32_e32 v11, 16, v11
	v_cndmask_b32_e64 v14, 0, 1, vcc_lo
	v_cmp_gt_i32_e32 vcc_lo, 31, v24
	v_and_or_b32 v16, 0x8000, v16, v6
	v_lshl_or_b32 v14, v14, 9, 0x7c00
	v_cndmask_b32_e32 v18, 0x7c00, v8, vcc_lo
	v_cmp_ne_u32_e32 vcc_lo, 0, v10
	v_mad_u64_u32 v[8:9], null, s8, v98, 0
	v_and_or_b32 v20, 0x1ff, v21, v20
	v_and_b32_e32 v16, 0xffff, v16
	v_cndmask_b32_e64 v10, 0, 1, vcc_lo
	v_cmp_eq_u32_e32 vcc_lo, 0x40f, v24
	v_lshrrev_b32_e32 v24, 8, v21
	v_mov_b32_e32 v6, v9
	v_cndmask_b32_e32 v14, v18, v14, vcc_lo
	v_and_or_b32 v18, 0xffe, v22, v10
	v_sub_nc_u32_e32 v10, 0x3f1, v23
	v_cmp_ne_u32_e32 vcc_lo, 0, v20
	v_and_or_b32 v14, 0x8000, v15, v14
	v_or_b32_e32 v15, 0x1000, v18
	v_med3_i32 v22, v10, 0, 13
	v_mad_u64_u32 v[9:10], null, s9, v98, v[6:7]
	v_cndmask_b32_e64 v20, 0, 1, vcc_lo
	v_bfe_u32 v6, v21, 20, 11
	v_lshrrev_b32_e32 v10, v22, v15
	v_lshl_or_b32 v16, v14, 16, v16
	v_lshrrev_b32_e32 v21, 16, v21
	v_and_or_b32 v20, 0xffe, v24, v20
	v_sub_nc_u32_e32 v25, 0x3f1, v6
	v_lshlrev_b32_e32 v22, v22, v10
	v_lshrrev_b32_e32 v24, 16, v19
	v_lshlrev_b64 v[8:9], 2, v[8:9]
	v_or_b32_e32 v26, 0x1000, v20
	v_med3_i32 v25, v25, 0, 13
	v_cmp_ne_u32_e32 vcc_lo, v22, v15
	v_add_nc_u32_e32 v22, 0xfffffc10, v23
	v_mul_f16_sdwa v27, v100, v24 dst_sel:DWORD dst_unused:UNUSED_PAD src0_sel:WORD_1 src1_sel:DWORD
	v_lshrrev_b32_e32 v23, v25, v26
	v_cndmask_b32_e64 v15, 0, 1, vcc_lo
	v_cmp_gt_i32_e32 vcc_lo, 1, v22
	v_fmac_f16_e32 v27, v100, v19
	v_cmp_gt_i32_e64 s1, 31, v22
	v_lshlrev_b32_e32 v25, v25, v23
	v_or_b32_e32 v10, v10, v15
	v_lshl_or_b32 v15, v22, 12, v18
	v_cvt_f32_f16_e32 v27, v27
	v_cndmask_b32_e32 v10, v15, v10, vcc_lo
	v_cmp_ne_u32_e32 vcc_lo, v25, v26
	v_add_nc_u32_e32 v26, 0xfffffc10, v6
	v_mul_f16_sdwa v6, v100, v19 dst_sel:DWORD dst_unused:UNUSED_PAD src0_sel:WORD_1 src1_sel:DWORD
	v_cvt_f64_f32_e32 v[14:15], v27
	v_and_b32_e32 v19, 7, v10
	v_cndmask_b32_e64 v25, 0, 1, vcc_lo
	v_lshrrev_b32_e32 v10, 2, v10
	v_fma_f16 v24, v100, v24, -v6
	v_add_co_u32 v6, vcc_lo, v1, v8
	v_add_co_ci_u32_e32 v7, vcc_lo, v7, v9, vcc_lo
	v_or_b32_e32 v23, v23, v25
	v_lshl_or_b32 v25, v26, 12, v20
	v_cmp_gt_i32_e32 vcc_lo, 1, v26
	v_cmp_eq_u32_e64 s0, 3, v19
	v_cvt_f32_f16_e32 v8, v24
	global_store_dword v[6:7], v16, off
	v_cndmask_b32_e32 v1, v25, v23, vcc_lo
	v_cmp_lt_i32_e32 vcc_lo, 5, v19
	v_cvt_f64_f32_e32 v[8:9], v8
	v_and_b32_e32 v19, 7, v1
	s_or_b32 vcc_lo, s0, vcc_lo
	v_mul_f64 v[14:15], v[14:15], s[6:7]
	v_add_co_ci_u32_e32 v10, vcc_lo, 0, v10, vcc_lo
	v_cmp_ne_u32_e32 vcc_lo, 0, v18
	v_cmp_eq_u32_e64 s0, 3, v19
	v_lshrrev_b32_e32 v1, 2, v1
	v_cndmask_b32_e64 v10, 0x7c00, v10, s1
	v_cndmask_b32_e64 v18, 0, 1, vcc_lo
	v_cmp_lt_i32_e32 vcc_lo, 5, v19
	v_lshl_or_b32 v18, v18, 9, 0x7c00
	s_or_b32 vcc_lo, s0, vcc_lo
	v_add_co_ci_u32_e32 v1, vcc_lo, 0, v1, vcc_lo
	v_cmp_ne_u32_e32 vcc_lo, 0, v20
	v_mul_f64 v[8:9], v[8:9], s[6:7]
	v_and_or_b32 v14, 0x1ff, v15, v14
	v_cndmask_b32_e64 v19, 0, 1, vcc_lo
	v_cmp_eq_u32_e32 vcc_lo, 0x40f, v22
	v_lshrrev_b32_e32 v20, 8, v15
	v_bfe_u32 v22, v15, 20, 11
	v_cndmask_b32_e32 v10, v10, v18, vcc_lo
	v_cmp_gt_i32_e32 vcc_lo, 31, v26
	v_lshl_or_b32 v18, v19, 9, 0x7c00
	v_lshrrev_b32_e32 v19, 16, v17
	v_and_or_b32 v10, 0x8000, v11, v10
	v_cndmask_b32_e32 v1, 0x7c00, v1, vcc_lo
	v_cmp_eq_u32_e32 vcc_lo, 0x40f, v26
	v_sub_nc_u32_e32 v11, 0x3f1, v22
	v_and_b32_e32 v10, 0xffff, v10
	v_cndmask_b32_e32 v1, v1, v18, vcc_lo
	v_cmp_ne_u32_e32 vcc_lo, 0, v14
	v_mul_f16_sdwa v18, v99, v19 dst_sel:DWORD dst_unused:UNUSED_PAD src0_sel:WORD_1 src1_sel:DWORD
	v_med3_i32 v11, v11, 0, 13
	v_and_or_b32 v8, 0x1ff, v9, v8
	v_and_or_b32 v1, 0x8000, v21, v1
	v_cndmask_b32_e64 v14, 0, 1, vcc_lo
	v_fmac_f16_e32 v18, v99, v17
	v_bfe_u32 v21, v9, 20, 11
	v_cmp_ne_u32_e32 vcc_lo, 0, v8
	v_lshl_or_b32 v16, v1, 16, v10
	v_and_or_b32 v14, 0xffe, v20, v14
	v_cvt_f32_f16_e32 v18, v18
	v_lshrrev_b32_e32 v8, 8, v9
	v_cndmask_b32_e64 v1, 0, 1, vcc_lo
	v_or_b32_e32 v20, 0x1000, v14
	v_cvt_f64_f32_e32 v[6:7], v18
	v_and_or_b32 v8, 0xffe, v8, v1
	v_sub_nc_u32_e32 v1, 0x3f1, v21
	v_lshrrev_b32_e32 v18, v11, v20
	v_add_nc_u32_e32 v21, 0xfffffc10, v21
	v_lshlrev_b32_e32 v23, v11, v18
	v_mad_u64_u32 v[10:11], null, 0xd0, s8, v[12:13]
	v_or_b32_e32 v13, 0x1000, v8
	v_cmp_gt_i32_e64 s1, 1, v21
	v_cmp_ne_u32_e32 vcc_lo, v23, v20
	v_add_nc_u32_e32 v20, 0xfffffc10, v22
	v_med3_i32 v22, v1, 0, 13
	v_mov_b32_e32 v1, v11
	v_cndmask_b32_e64 v12, 0, 1, vcc_lo
	v_mul_f16_sdwa v11, v99, v17 dst_sel:DWORD dst_unused:UNUSED_PAD src0_sel:WORD_1 src1_sel:DWORD
	v_lshl_or_b32 v17, v20, 12, v14
	v_cmp_gt_i32_e32 vcc_lo, 1, v20
	v_mul_f64 v[6:7], v[6:7], s[6:7]
	v_or_b32_e32 v12, v18, v12
	v_lshrrev_b32_e32 v18, v22, v13
	v_fma_f16 v19, v99, v19, -v11
	v_cndmask_b32_e32 v17, v17, v12, vcc_lo
	v_lshlrev_b32_e32 v22, v22, v18
	v_mad_u64_u32 v[11:12], null, 0xd0, s9, v[1:2]
	v_cvt_f32_f16_e32 v1, v19
	v_and_b32_e32 v19, 7, v17
	v_cmp_ne_u32_e32 vcc_lo, v22, v13
	v_lshrrev_b32_e32 v17, 2, v17
	v_cvt_f64_f32_e32 v[12:13], v1
	v_cmp_eq_u32_e64 s0, 3, v19
	v_cndmask_b32_e64 v22, 0, 1, vcc_lo
	v_cmp_lt_i32_e32 vcc_lo, 5, v19
	global_store_dword v[10:11], v16, off
	v_and_or_b32 v6, 0x1ff, v7, v6
	s_or_b32 vcc_lo, s0, vcc_lo
	v_or_b32_e32 v1, v18, v22
	v_add_co_ci_u32_e32 v17, vcc_lo, 0, v17, vcc_lo
	v_cmp_ne_u32_e32 vcc_lo, 0, v14
	v_lshl_or_b32 v18, v21, 12, v8
	v_lshrrev_b32_e32 v22, 8, v7
	v_bfe_u32 v23, v7, 20, 11
	v_cndmask_b32_e64 v14, 0, 1, vcc_lo
	v_cmp_ne_u32_e32 vcc_lo, 0, v6
	v_cndmask_b32_e64 v1, v18, v1, s1
	ds_read2_b32 v[5:6], v5 offset0:168 offset1:220
	v_cmp_eq_u32_e64 s1, 0x40f, v20
	v_mul_f64 v[12:13], v[12:13], s[6:7]
	v_cndmask_b32_e64 v19, 0, 1, vcc_lo
	v_and_b32_e32 v18, 7, v1
	v_cmp_gt_i32_e32 vcc_lo, 31, v20
	v_lshrrev_b32_e32 v1, 2, v1
	v_lshl_or_b32 v14, v14, 9, 0x7c00
	v_and_or_b32 v19, 0xffe, v22, v19
	v_sub_nc_u32_e32 v22, 0x3f1, v23
	v_cndmask_b32_e32 v17, 0x7c00, v17, vcc_lo
	v_cmp_lt_i32_e32 vcc_lo, 5, v18
	v_cmp_eq_u32_e64 s0, 3, v18
	v_or_b32_e32 v18, 0x1000, v19
	v_med3_i32 v22, v22, 0, 13
	v_cndmask_b32_e64 v17, v17, v14, s1
	v_lshrrev_b32_e32 v20, 16, v15
	s_or_b32 vcc_lo, s0, vcc_lo
	v_add_nc_u32_e32 v23, 0xfffffc10, v23
	v_add_co_ci_u32_e32 v1, vcc_lo, 0, v1, vcc_lo
	v_lshrrev_b32_e32 v14, v22, v18
	v_cmp_gt_i32_e32 vcc_lo, 31, v21
	s_waitcnt lgkmcnt(0)
	v_lshrrev_b32_e32 v24, 16, v5
	v_and_or_b32 v12, 0x1ff, v13, v12
	v_bfe_u32 v25, v13, 20, 11
	v_lshlrev_b32_e32 v15, v22, v14
	v_cndmask_b32_e32 v1, 0x7c00, v1, vcc_lo
	v_cmp_ne_u32_e32 vcc_lo, 0, v8
	v_mul_f16_sdwa v22, v97, v24 dst_sel:DWORD dst_unused:UNUSED_PAD src0_sel:WORD_1 src1_sel:DWORD
	v_cndmask_b32_e64 v8, 0, 1, vcc_lo
	v_cmp_ne_u32_e32 vcc_lo, v15, v18
	v_fmac_f16_e32 v22, v97, v5
	v_lshrrev_b32_e32 v18, 8, v13
	v_mul_f16_sdwa v5, v97, v5 dst_sel:DWORD dst_unused:UNUSED_PAD src0_sel:WORD_1 src1_sel:DWORD
	v_lshl_or_b32 v8, v8, 9, 0x7c00
	v_cndmask_b32_e64 v15, 0, 1, vcc_lo
	v_cmp_ne_u32_e32 vcc_lo, 0, v12
	v_cvt_f32_f16_e32 v22, v22
	v_fma_f16 v5, v97, v24, -v5
	v_add_nc_u32_e32 v24, 0xfffffc10, v25
	v_or_b32_e32 v26, v14, v15
	v_cndmask_b32_e64 v12, 0, 1, vcc_lo
	v_cvt_f64_f32_e32 v[14:15], v22
	v_lshl_or_b32 v22, v23, 12, v19
	v_cmp_gt_i32_e32 vcc_lo, 1, v23
	v_cvt_f32_f16_e32 v5, v5
	v_and_or_b32 v12, 0xffe, v18, v12
	v_sub_nc_u32_e32 v18, 0x3f1, v25
	v_lshrrev_b32_e32 v13, 16, v13
	v_cndmask_b32_e32 v22, v22, v26, vcc_lo
	v_cmp_eq_u32_e32 vcc_lo, 0x40f, v21
	v_or_b32_e32 v27, 0x1000, v12
	v_med3_i32 v18, v18, 0, 13
	v_cndmask_b32_e32 v1, v1, v8, vcc_lo
	v_lshrrev_b32_e32 v8, 16, v9
	v_lshrrev_b32_e32 v21, v18, v27
	v_and_or_b32 v9, 0x8000, v20, v17
	v_and_b32_e32 v17, 7, v22
	v_and_or_b32 v1, 0x8000, v8, v1
	v_lshlrev_b32_e32 v18, v18, v21
	v_and_b32_e32 v20, 0xffff, v9
	v_cmp_lt_i32_e32 vcc_lo, 5, v17
	v_mul_f64 v[8:9], v[14:15], s[6:7]
	v_cvt_f64_f32_e32 v[14:15], v5
	v_cmp_ne_u32_e64 s0, v18, v27
	v_lshl_or_b32 v1, v1, 16, v20
	v_cndmask_b32_e64 v18, 0, 1, s0
	v_cmp_eq_u32_e64 s0, 3, v17
	v_lshrrev_b32_e32 v17, 2, v22
	v_or_b32_e32 v18, v21, v18
	s_or_b32 vcc_lo, s0, vcc_lo
	v_lshl_or_b32 v21, v24, 12, v12
	v_add_co_ci_u32_e32 v5, vcc_lo, 0, v17, vcc_lo
	v_cmp_ne_u32_e32 vcc_lo, 0, v19
	v_cndmask_b32_e64 v17, 0, 1, vcc_lo
	v_cmp_gt_i32_e32 vcc_lo, 1, v24
	v_and_or_b32 v19, 0x1ff, v9, v8
	v_mul_f64 v[14:15], v[14:15], s[6:7]
	v_bfe_u32 v20, v9, 20, 11
	v_lshl_or_b32 v17, v17, 9, 0x7c00
	v_cndmask_b32_e32 v18, v21, v18, vcc_lo
	v_cmp_gt_i32_e32 vcc_lo, 31, v23
	v_cmp_ne_u32_e64 s1, 0, v19
	v_lshrrev_b32_e32 v19, 8, v9
	v_and_b32_e32 v16, 7, v18
	v_cndmask_b32_e32 v5, 0x7c00, v5, vcc_lo
	v_cmp_eq_u32_e32 vcc_lo, 0x40f, v23
	v_cmp_eq_u32_e64 s0, 3, v16
	v_cndmask_b32_e32 v5, v5, v17, vcc_lo
	v_lshrrev_b32_e32 v17, 16, v7
	ds_read2_b32 v[7:8], v4 offset0:56 offset1:108
	v_cmp_lt_i32_e32 vcc_lo, 5, v16
	v_lshrrev_b32_e32 v16, 2, v18
	v_cndmask_b32_e64 v18, 0, 1, s1
	v_and_or_b32 v5, 0x8000, v17, v5
	v_and_or_b32 v14, 0x1ff, v15, v14
	s_or_b32 vcc_lo, s0, vcc_lo
	v_add_co_ci_u32_e32 v16, vcc_lo, 0, v16, vcc_lo
	v_cmp_ne_u32_e32 vcc_lo, 0, v12
	v_and_or_b32 v18, 0xffe, v19, v18
	v_sub_nc_u32_e32 v19, 0x3f1, v20
	v_add_nc_u32_e32 v20, 0xfffffc10, v20
	v_and_b32_e32 v5, 0xffff, v5
	v_cndmask_b32_e64 v12, 0, 1, vcc_lo
	v_cmp_gt_i32_e32 vcc_lo, 31, v24
	v_or_b32_e32 v21, 0x1000, v18
	v_med3_i32 v19, v19, 0, 13
	v_lshl_or_b32 v12, v12, 9, 0x7c00
	v_cndmask_b32_e32 v16, 0x7c00, v16, vcc_lo
	s_waitcnt lgkmcnt(0)
	v_lshrrev_b32_e32 v22, 16, v7
	v_cmp_eq_u32_e32 vcc_lo, 0x40f, v24
	v_lshrrev_b32_e32 v23, v19, v21
	v_bfe_u32 v24, v15, 20, 11
	v_cndmask_b32_e32 v12, v16, v12, vcc_lo
	v_mul_f16_sdwa v16, v96, v22 dst_sel:DWORD dst_unused:UNUSED_PAD src0_sel:WORD_1 src1_sel:DWORD
	v_cmp_ne_u32_e32 vcc_lo, 0, v14
	v_and_or_b32 v17, 0x8000, v13, v12
	v_fmac_f16_e32 v16, v96, v7
	v_lshlrev_b32_e32 v12, v19, v23
	v_cndmask_b32_e64 v14, 0, 1, vcc_lo
	v_lshrrev_b32_e32 v19, 8, v15
	v_mul_f16_sdwa v7, v96, v7 dst_sel:DWORD dst_unused:UNUSED_PAD src0_sel:WORD_1 src1_sel:DWORD
	v_cvt_f32_f16_e32 v13, v16
	v_cmp_ne_u32_e32 vcc_lo, v12, v21
	v_lshl_or_b32 v21, v20, 12, v18
	v_and_or_b32 v14, 0xffe, v19, v14
	v_sub_nc_u32_e32 v19, 0x3f1, v24
	v_cvt_f64_f32_e32 v[12:13], v13
	v_cndmask_b32_e64 v16, 0, 1, vcc_lo
	v_add_co_u32 v10, vcc_lo, v10, s3
	v_med3_i32 v19, v19, 0, 13
	v_add_co_ci_u32_e32 v11, vcc_lo, s2, v11, vcc_lo
	v_or_b32_e32 v16, v23, v16
	v_or_b32_e32 v23, 0x1000, v14
	v_cmp_gt_i32_e32 vcc_lo, 1, v20
	v_lshl_or_b32 v5, v17, 16, v5
	v_lshrrev_b32_e32 v25, v19, v23
	v_cndmask_b32_e32 v21, v21, v16, vcc_lo
	v_add_co_u32 v16, vcc_lo, v10, s5
	v_add_co_ci_u32_e32 v17, vcc_lo, s4, v11, vcc_lo
	v_lshlrev_b32_e32 v19, v19, v25
	v_and_b32_e32 v26, 7, v21
	global_store_dword v[10:11], v1, off
	global_store_dword v[16:17], v5, off
	v_mul_f64 v[12:13], v[12:13], s[6:7]
	v_fma_f16 v1, v96, v22, -v7
	v_cmp_ne_u32_e64 s0, v19, v23
	v_cmp_lt_i32_e32 vcc_lo, 5, v26
	v_lshrrev_b32_e32 v19, 2, v21
	v_add_nc_u32_e32 v7, 0xfffffc10, v24
	v_cvt_f32_f16_e32 v1, v1
	v_cndmask_b32_e64 v5, 0, 1, s0
	v_cmp_eq_u32_e64 s0, 3, v26
	v_lshl_or_b32 v21, v7, 12, v14
	v_cvt_f64_f32_e32 v[10:11], v1
	v_or_b32_e32 v5, v25, v5
	s_or_b32 vcc_lo, s0, vcc_lo
	v_add_co_ci_u32_e32 v1, vcc_lo, 0, v19, vcc_lo
	v_cmp_ne_u32_e32 vcc_lo, 0, v18
	v_cndmask_b32_e64 v18, 0, 1, vcc_lo
	v_cmp_gt_i32_e32 vcc_lo, 1, v7
	v_and_or_b32 v12, 0x1ff, v13, v12
	v_bfe_u32 v22, v13, 20, 11
	v_lshl_or_b32 v18, v18, 9, 0x7c00
	v_cndmask_b32_e32 v5, v21, v5, vcc_lo
	v_cmp_gt_i32_e32 vcc_lo, 31, v20
	v_lshrrev_b32_e32 v21, 8, v13
	v_lshrrev_b32_e32 v13, 16, v13
	v_and_b32_e32 v19, 7, v5
	v_cndmask_b32_e32 v1, 0x7c00, v1, vcc_lo
	v_cmp_ne_u32_e32 vcc_lo, 0, v12
	v_lshrrev_b32_e32 v5, 2, v5
	v_cmp_eq_u32_e64 s0, 3, v19
	v_cndmask_b32_e64 v12, 0, 1, vcc_lo
	v_cmp_eq_u32_e32 vcc_lo, 0x40f, v20
	v_and_or_b32 v20, 0xffe, v21, v12
	v_cndmask_b32_e32 v1, v1, v18, vcc_lo
	v_cmp_lt_i32_e32 vcc_lo, 5, v19
	v_lshrrev_b32_e32 v18, 16, v9
	v_mul_f64 v[9:10], v[10:11], s[6:7]
	v_sub_nc_u32_e32 v12, 0x3f1, v22
	v_lshrrev_b32_e32 v21, 16, v6
	s_or_b32 vcc_lo, s0, vcc_lo
	v_or_b32_e32 v19, 0x1000, v20
	v_add_co_ci_u32_e32 v5, vcc_lo, 0, v5, vcc_lo
	v_med3_i32 v11, v12, 0, 13
	v_cmp_ne_u32_e32 vcc_lo, 0, v14
	v_mul_f16_sdwa v12, v95, v21 dst_sel:DWORD dst_unused:UNUSED_PAD src0_sel:WORD_1 src1_sel:DWORD
	v_and_or_b32 v1, 0x8000, v18, v1
	v_lshrrev_b32_e32 v23, v11, v19
	v_cndmask_b32_e64 v14, 0, 1, vcc_lo
	v_cmp_gt_i32_e32 vcc_lo, 31, v7
	v_fmac_f16_e32 v12, v95, v6
	v_and_b32_e32 v1, 0xffff, v1
	v_lshlrev_b32_e32 v18, v11, v23
	v_lshl_or_b32 v14, v14, 9, 0x7c00
	v_cndmask_b32_e32 v5, 0x7c00, v5, vcc_lo
	v_cmp_eq_u32_e32 vcc_lo, 0x40f, v7
	v_cvt_f32_f16_e32 v12, v12
	v_and_or_b32 v7, 0x1ff, v10, v9
	v_lshrrev_b32_e32 v9, 16, v15
	v_lshrrev_b32_e32 v15, 8, v10
	v_cndmask_b32_e32 v5, v5, v14, vcc_lo
	v_cmp_ne_u32_e32 vcc_lo, v18, v19
	v_cvt_f64_f32_e32 v[11:12], v12
	v_add_nc_u32_e32 v18, 0xfffffc10, v22
	v_bfe_u32 v19, v10, 20, 11
	v_and_or_b32 v5, 0x8000, v9, v5
	v_cndmask_b32_e64 v14, 0, 1, vcc_lo
	v_cmp_ne_u32_e32 vcc_lo, 0, v7
	v_mul_f16_sdwa v22, v95, v6 dst_sel:DWORD dst_unused:UNUSED_PAD src0_sel:WORD_1 src1_sel:DWORD
	v_lshrrev_b32_e32 v10, 16, v10
	v_lshl_or_b32 v1, v5, 16, v1
	v_or_b32_e32 v9, v23, v14
	v_cndmask_b32_e64 v7, 0, 1, vcc_lo
	v_lshl_or_b32 v14, v18, 12, v20
	v_cmp_gt_i32_e32 vcc_lo, 1, v18
	v_fma_f16 v21, v95, v21, -v22
	v_and_or_b32 v7, 0xffe, v15, v7
	v_sub_nc_u32_e32 v15, 0x3f1, v19
	v_cndmask_b32_e32 v9, v14, v9, vcc_lo
	v_or_b32_e32 v14, 0x1000, v7
	v_med3_i32 v15, v15, 0, 13
	v_mul_f64 v[5:6], v[11:12], s[6:7]
	v_and_b32_e32 v23, 7, v9
	v_add_co_u32 v11, vcc_lo, v16, s3
	v_lshrrev_b32_e32 v24, v15, v14
	v_add_co_ci_u32_e32 v12, vcc_lo, s2, v17, vcc_lo
	v_cmp_lt_i32_e32 vcc_lo, 5, v23
	v_cmp_eq_u32_e64 s0, 3, v23
	v_lshlrev_b32_e32 v15, v15, v24
	v_lshrrev_b32_e32 v9, 2, v9
	v_cvt_f32_f16_e32 v16, v21
	global_store_dword v[11:12], v1, off
	s_or_b32 vcc_lo, s0, vcc_lo
	v_cmp_ne_u32_e64 s1, v15, v14
	v_add_co_ci_u32_e32 v9, vcc_lo, 0, v9, vcc_lo
	v_cvt_f64_f32_e32 v[14:15], v16
	v_add_nc_u32_e32 v16, 0xfffffc10, v19
	v_cndmask_b32_e64 v17, 0, 1, s1
	v_cmp_ne_u32_e32 vcc_lo, 0, v20
	v_and_or_b32 v5, 0x1ff, v6, v5
	v_lshl_or_b32 v19, v16, 12, v7
	v_or_b32_e32 v17, v24, v17
	v_cndmask_b32_e64 v20, 0, 1, vcc_lo
	v_cmp_gt_i32_e32 vcc_lo, 1, v16
	v_bfe_u32 v21, v6, 20, 11
	v_lshl_or_b32 v20, v20, 9, 0x7c00
	v_cndmask_b32_e32 v17, v19, v17, vcc_lo
	v_cmp_ne_u32_e32 vcc_lo, 0, v5
	v_lshrrev_b32_e32 v19, 8, v6
	v_and_b32_e32 v22, 7, v17
	v_cndmask_b32_e64 v5, 0, 1, vcc_lo
	v_cmp_gt_i32_e32 vcc_lo, 31, v18
	v_mul_f64 v[14:15], v[14:15], s[6:7]
	v_cmp_eq_u32_e64 s0, 3, v22
	v_and_or_b32 v5, 0xffe, v19, v5
	v_cndmask_b32_e32 v9, 0x7c00, v9, vcc_lo
	v_cmp_eq_u32_e32 vcc_lo, 0x40f, v18
	v_sub_nc_u32_e32 v19, 0x3f1, v21
	v_or_b32_e32 v18, 0x1000, v5
	v_cndmask_b32_e32 v9, v9, v20, vcc_lo
	v_cmp_lt_i32_e32 vcc_lo, 5, v22
	v_med3_i32 v19, v19, 0, 13
	v_lshrrev_b32_e32 v20, 16, v8
	v_and_or_b32 v9, 0x8000, v13, v9
	v_lshrrev_b32_e32 v13, 2, v17
	s_or_b32 vcc_lo, s0, vcc_lo
	v_lshrrev_b32_e32 v17, v19, v18
	v_mul_f16_sdwa v22, v94, v20 dst_sel:DWORD dst_unused:UNUSED_PAD src0_sel:WORD_1 src1_sel:DWORD
	v_and_b32_e32 v9, 0xffff, v9
	v_add_co_ci_u32_e32 v13, vcc_lo, 0, v13, vcc_lo
	v_cmp_ne_u32_e32 vcc_lo, 0, v7
	v_lshlrev_b32_e32 v19, v19, v17
	v_fmac_f16_e32 v22, v94, v8
	v_bfe_u32 v24, v15, 20, 11
	v_mul_f16_sdwa v8, v94, v8 dst_sel:DWORD dst_unused:UNUSED_PAD src0_sel:WORD_1 src1_sel:DWORD
	v_cndmask_b32_e64 v7, 0, 1, vcc_lo
	v_cmp_gt_i32_e32 vcc_lo, 31, v16
	v_fma_f16 v8, v94, v20, -v8
	v_lshl_or_b32 v7, v7, 9, 0x7c00
	v_cndmask_b32_e32 v23, 0x7c00, v13, vcc_lo
	v_and_or_b32 v13, 0x1ff, v15, v14
	v_cmp_ne_u32_e32 vcc_lo, v19, v18
	v_cvt_f32_f16_e32 v14, v22
	v_add_nc_u32_e32 v19, 0xfffffc10, v21
	v_lshrrev_b32_e32 v22, 8, v15
	v_cvt_f32_f16_e32 v20, v8
	v_cndmask_b32_e64 v18, 0, 1, vcc_lo
	v_cmp_ne_u32_e32 vcc_lo, 0, v13
	v_cvt_f64_f32_e32 v[13:14], v14
	v_lshrrev_b32_e32 v15, 16, v15
	v_or_b32_e32 v17, v17, v18
	v_cndmask_b32_e64 v21, 0, 1, vcc_lo
	v_cmp_eq_u32_e32 vcc_lo, 0x40f, v16
	v_lshl_or_b32 v18, v19, 12, v5
	v_and_or_b32 v16, 0xffe, v22, v21
	v_sub_nc_u32_e32 v21, 0x3f1, v24
	v_cndmask_b32_e32 v7, v23, v7, vcc_lo
	v_cmp_gt_i32_e32 vcc_lo, 1, v19
	v_or_b32_e32 v22, 0x1000, v16
	v_med3_i32 v21, v21, 0, 13
	v_and_or_b32 v7, 0x8000, v10, v7
	v_cndmask_b32_e32 v17, v18, v17, vcc_lo
	v_lshrrev_b32_e32 v18, v21, v22
	v_lshl_or_b32 v1, v7, 16, v9
	v_and_b32_e32 v10, 7, v17
	v_mul_f64 v[7:8], v[13:14], s[6:7]
	v_lshrrev_b32_e32 v14, 2, v17
	v_lshlrev_b32_e32 v9, v21, v18
	v_cmp_lt_i32_e32 vcc_lo, 5, v10
	v_cmp_eq_u32_e64 s0, 3, v10
	v_cmp_ne_u32_e64 s1, v9, v22
	v_cvt_f64_f32_e32 v[9:10], v20
	v_add_nc_u32_e32 v20, 0xfffffc10, v24
	s_or_b32 vcc_lo, s0, vcc_lo
	v_add_co_ci_u32_e32 v14, vcc_lo, 0, v14, vcc_lo
	v_cndmask_b32_e64 v13, 0, 1, s1
	v_cmp_ne_u32_e32 vcc_lo, 0, v5
	v_lshl_or_b32 v17, v20, 12, v16
	v_add_co_u32 v11, s1, v11, s5
	v_or_b32_e32 v13, v18, v13
	v_cndmask_b32_e64 v5, 0, 1, vcc_lo
	v_cmp_gt_i32_e32 vcc_lo, 1, v20
	v_and_or_b32 v7, 0x1ff, v8, v7
	v_lshrrev_b32_e32 v22, 8, v8
	v_bfe_u32 v23, v8, 20, 11
	v_lshl_or_b32 v5, v5, 9, 0x7c00
	v_cndmask_b32_e32 v17, v17, v13, vcc_lo
	v_cmp_gt_i32_e32 vcc_lo, 31, v19
	v_add_co_ci_u32_e64 v12, s1, s4, v12, s1
	v_mul_f64 v[9:10], v[9:10], s[6:7]
	v_and_b32_e32 v21, 7, v17
	v_cndmask_b32_e32 v18, 0x7c00, v14, vcc_lo
	v_cmp_ne_u32_e32 vcc_lo, 0, v7
	ds_read2_b32 v[13:14], v2 offset0:16 offset1:68
	global_store_dword v[11:12], v1, off
	v_cmp_eq_u32_e64 s0, 3, v21
	v_lshrrev_b32_e32 v8, 16, v8
	v_cndmask_b32_e64 v7, 0, 1, vcc_lo
	v_cmp_eq_u32_e32 vcc_lo, 0x40f, v19
	v_lshrrev_b32_e32 v19, 16, v6
	v_lshrrev_b32_e32 v6, 2, v17
	v_and_or_b32 v7, 0xffe, v22, v7
	v_cndmask_b32_e32 v18, v18, v5, vcc_lo
	v_cmp_lt_i32_e32 vcc_lo, 5, v21
	v_sub_nc_u32_e32 v5, 0x3f1, v23
	v_add_nc_u32_e32 v23, 0xfffffc10, v23
	v_or_b32_e32 v17, 0x1000, v7
	v_and_or_b32 v18, 0x8000, v19, v18
	s_or_b32 vcc_lo, s0, vcc_lo
	v_med3_i32 v5, v5, 0, 13
	v_add_co_ci_u32_e32 v6, vcc_lo, 0, v6, vcc_lo
	v_cmp_ne_u32_e32 vcc_lo, 0, v16
	s_waitcnt lgkmcnt(0)
	v_lshrrev_b32_e32 v21, 16, v13
	v_and_or_b32 v9, 0x1ff, v10, v9
	v_lshrrev_b32_e32 v22, v5, v17
	v_bfe_u32 v26, v10, 20, 11
	v_cndmask_b32_e64 v16, 0, 1, vcc_lo
	v_cmp_gt_i32_e32 vcc_lo, 31, v20
	v_mul_f16_sdwa v24, v93, v21 dst_sel:DWORD dst_unused:UNUSED_PAD src0_sel:WORD_1 src1_sel:DWORD
	v_lshlrev_b32_e32 v5, v5, v22
	v_sub_nc_u32_e32 v27, 0x3f1, v26
	v_lshl_or_b32 v16, v16, 9, 0x7c00
	v_cndmask_b32_e32 v25, 0x7c00, v6, vcc_lo
	v_cmp_ne_u32_e32 vcc_lo, 0, v9
	v_fmac_f16_e32 v24, v93, v13
	v_lshrrev_b32_e32 v9, 8, v10
	v_med3_i32 v27, v27, 0, 13
	v_mul_f16_sdwa v13, v93, v13 dst_sel:DWORD dst_unused:UNUSED_PAD src0_sel:WORD_1 src1_sel:DWORD
	v_cndmask_b32_e64 v6, 0, 1, vcc_lo
	v_cvt_f32_f16_e32 v24, v24
	v_cmp_ne_u32_e32 vcc_lo, v5, v17
	v_and_b32_e32 v18, 0xffff, v18
	v_fma_f16 v13, v93, v21, -v13
	v_and_or_b32 v9, 0xffe, v9, v6
	v_cvt_f64_f32_e32 v[5:6], v24
	v_cndmask_b32_e64 v17, 0, 1, vcc_lo
	v_cmp_eq_u32_e32 vcc_lo, 0x40f, v20
	v_cvt_f32_f16_e32 v13, v13
	v_or_b32_e32 v24, 0x1000, v9
	v_or_b32_e32 v17, v22, v17
	v_lshl_or_b32 v22, v23, 12, v7
	v_cndmask_b32_e32 v16, v25, v16, vcc_lo
	v_cmp_gt_i32_e32 vcc_lo, 1, v23
	v_lshrrev_b32_e32 v20, v27, v24
	v_and_or_b32 v25, 0x8000, v15, v16
	v_cndmask_b32_e32 v17, v22, v17, vcc_lo
	v_lshlrev_b32_e32 v22, v27, v20
	v_cvt_f64_f32_e32 v[15:16], v13
	v_and_b32_e32 v19, 7, v17
	v_cmp_ne_u32_e64 s0, v22, v24
	v_lshrrev_b32_e32 v17, 2, v17
	v_mul_f64 v[5:6], v[5:6], s[6:7]
	v_add_nc_u32_e32 v22, 0xfffffc10, v26
	v_cmp_lt_i32_e32 vcc_lo, 5, v19
	v_cndmask_b32_e64 v21, 0, 1, s0
	v_cmp_eq_u32_e64 s0, 3, v19
	v_lshl_or_b32 v19, v22, 12, v9
	v_or_b32_e32 v13, v20, v21
	s_or_b32 vcc_lo, s0, vcc_lo
	v_add_co_ci_u32_e32 v17, vcc_lo, 0, v17, vcc_lo
	v_cmp_ne_u32_e32 vcc_lo, 0, v7
	v_mul_f64 v[15:16], v[15:16], s[6:7]
	v_cndmask_b32_e64 v7, 0, 1, vcc_lo
	v_cmp_gt_i32_e32 vcc_lo, 1, v22
	v_and_or_b32 v5, 0x1ff, v6, v5
	v_lshl_or_b32 v7, v7, 9, 0x7c00
	v_cndmask_b32_e32 v13, v19, v13, vcc_lo
	v_cmp_gt_i32_e32 vcc_lo, 31, v23
	v_lshl_or_b32 v19, v25, 16, v18
	v_cmp_ne_u32_e64 s1, 0, v5
	v_bfe_u32 v18, v6, 20, 11
	v_and_b32_e32 v1, 7, v13
	v_cndmask_b32_e32 v17, 0x7c00, v17, vcc_lo
	v_cmp_eq_u32_e32 vcc_lo, 0x40f, v23
	ds_read2_b32 v[4:5], v4 offset0:160 offset1:212
	v_cmp_eq_u32_e64 s0, 3, v1
	v_cndmask_b32_e32 v7, v17, v7, vcc_lo
	v_cmp_lt_i32_e32 vcc_lo, 5, v1
	v_lshrrev_b32_e32 v1, 2, v13
	v_cndmask_b32_e64 v13, 0, 1, s1
	v_lshrrev_b32_e32 v17, 8, v6
	v_and_or_b32 v15, 0x1ff, v16, v15
	s_or_b32 vcc_lo, s0, vcc_lo
	v_and_or_b32 v7, 0x8000, v8, v7
	v_add_co_ci_u32_e32 v1, vcc_lo, 0, v1, vcc_lo
	v_cmp_ne_u32_e32 vcc_lo, 0, v9
	v_and_or_b32 v13, 0xffe, v17, v13
	v_sub_nc_u32_e32 v17, 0x3f1, v18
	v_and_b32_e32 v24, 0xffff, v7
	v_cndmask_b32_e64 v9, 0, 1, vcc_lo
	v_cmp_gt_i32_e32 vcc_lo, 31, v22
	v_or_b32_e32 v20, 0x1000, v13
	v_med3_i32 v17, v17, 0, 13
	s_waitcnt lgkmcnt(0)
	v_lshrrev_b32_e32 v21, 16, v4
	v_lshl_or_b32 v9, v9, 9, 0x7c00
	v_cndmask_b32_e32 v1, 0x7c00, v1, vcc_lo
	v_cmp_eq_u32_e32 vcc_lo, 0x40f, v22
	v_bfe_u32 v22, v16, 20, 11
	v_cndmask_b32_e32 v1, v1, v9, vcc_lo
	v_lshrrev_b32_e32 v9, 16, v10
	v_lshrrev_b32_e32 v10, v17, v20
	v_cmp_ne_u32_e32 vcc_lo, 0, v15
	v_mul_f16_sdwa v15, v92, v21 dst_sel:DWORD dst_unused:UNUSED_PAD src0_sel:WORD_1 src1_sel:DWORD
	v_and_or_b32 v1, 0x8000, v9, v1
	v_lshlrev_b32_e32 v8, v17, v10
	v_cndmask_b32_e64 v9, 0, 1, vcc_lo
	v_lshrrev_b32_e32 v17, 8, v16
	v_fmac_f16_e32 v15, v92, v4
	v_mul_f16_sdwa v4, v92, v4 dst_sel:DWORD dst_unused:UNUSED_PAD src0_sel:WORD_1 src1_sel:DWORD
	v_cmp_ne_u32_e32 vcc_lo, v8, v20
	v_add_nc_u32_e32 v20, 0xfffffc10, v18
	v_and_or_b32 v23, 0xffe, v17, v9
	v_sub_nc_u32_e32 v9, 0x3f1, v22
	v_lshl_or_b32 v1, v1, 16, v24
	v_cndmask_b32_e64 v8, 0, 1, vcc_lo
	v_cmp_gt_i32_e32 vcc_lo, 1, v20
	v_or_b32_e32 v17, 0x1000, v23
	v_med3_i32 v18, v9, 0, 13
	v_fma_f16 v4, v92, v21, -v4
	v_or_b32_e32 v10, v10, v8
	v_cvt_f32_f16_e32 v8, v15
	v_lshl_or_b32 v15, v20, 12, v13
	v_lshrrev_b32_e32 v25, v18, v17
	v_cvt_f32_f16_e32 v4, v4
	v_add_nc_u32_e32 v21, 0xfffffc10, v22
	v_cvt_f64_f32_e32 v[7:8], v8
	v_cndmask_b32_e32 v15, v15, v10, vcc_lo
	v_lshlrev_b32_e32 v18, v18, v25
	v_add_co_u32 v9, vcc_lo, v11, s3
	v_add_co_ci_u32_e32 v10, vcc_lo, s2, v12, vcc_lo
	v_and_b32_e32 v24, 7, v15
	v_cmp_ne_u32_e64 s0, v18, v17
	v_add_co_u32 v11, vcc_lo, v9, s5
	v_add_co_ci_u32_e32 v12, vcc_lo, s4, v10, vcc_lo
	v_cmp_lt_i32_e32 vcc_lo, 5, v24
	v_cndmask_b32_e64 v17, 0, 1, s0
	v_cmp_eq_u32_e64 s0, 3, v24
	v_lshrrev_b32_e32 v15, 2, v15
	global_store_dword v[9:10], v19, off
	global_store_dword v[11:12], v1, off
	v_lshrrev_b32_e32 v16, 16, v16
	v_or_b32_e32 v22, v25, v17
	s_or_b32 vcc_lo, s0, vcc_lo
	v_cvt_f64_f32_e32 v[17:18], v4
	v_mul_f64 v[7:8], v[7:8], s[6:7]
	v_add_co_ci_u32_e32 v15, vcc_lo, 0, v15, vcc_lo
	v_cmp_ne_u32_e32 vcc_lo, 0, v13
	v_lshl_or_b32 v4, v21, 12, v23
	v_cndmask_b32_e64 v13, 0, 1, vcc_lo
	v_cmp_gt_i32_e32 vcc_lo, 1, v21
	v_lshl_or_b32 v13, v13, 9, 0x7c00
	v_cndmask_b32_e32 v4, v4, v22, vcc_lo
	v_cmp_gt_i32_e32 vcc_lo, 31, v20
	v_and_b32_e32 v1, 7, v4
	v_cndmask_b32_e32 v15, 0x7c00, v15, vcc_lo
	v_cmp_eq_u32_e32 vcc_lo, 0x40f, v20
	v_and_or_b32 v9, 0x1ff, v8, v7
	v_cmp_eq_u32_e64 s0, 3, v1
	v_cndmask_b32_e32 v13, v15, v13, vcc_lo
	v_lshrrev_b32_e32 v15, 16, v6
	v_mul_f64 v[6:7], v[17:18], s[6:7]
	v_cmp_ne_u32_e64 s1, 0, v9
	v_cmp_lt_i32_e32 vcc_lo, 5, v1
	v_lshrrev_b32_e32 v1, 2, v4
	v_lshrrev_b32_e32 v9, 8, v8
	v_bfe_u32 v17, v8, 20, 11
	v_cndmask_b32_e64 v4, 0, 1, s1
	s_or_b32 vcc_lo, s0, vcc_lo
	v_lshrrev_b32_e32 v18, 16, v14
	v_add_co_ci_u32_e32 v1, vcc_lo, 0, v1, vcc_lo
	v_and_or_b32 v4, 0xffe, v9, v4
	v_sub_nc_u32_e32 v9, 0x3f1, v17
	v_cmp_ne_u32_e32 vcc_lo, 0, v23
	v_mul_f16_sdwa v10, v91, v18 dst_sel:DWORD dst_unused:UNUSED_PAD src0_sel:WORD_1 src1_sel:DWORD
	v_add_nc_u32_e32 v17, 0xfffffc10, v17
	v_or_b32_e32 v20, 0x1000, v4
	v_med3_i32 v9, v9, 0, 13
	v_cndmask_b32_e64 v19, 0, 1, vcc_lo
	v_cmp_gt_i32_e32 vcc_lo, 31, v21
	v_fmac_f16_e32 v10, v91, v14
	v_mul_f16_sdwa v14, v91, v14 dst_sel:DWORD dst_unused:UNUSED_PAD src0_sel:WORD_1 src1_sel:DWORD
	v_lshrrev_b32_e32 v22, v9, v20
	v_lshl_or_b32 v19, v19, 9, 0x7c00
	v_cndmask_b32_e32 v1, 0x7c00, v1, vcc_lo
	v_and_or_b32 v6, 0x1ff, v7, v6
	v_cmp_eq_u32_e32 vcc_lo, 0x40f, v21
	v_cvt_f32_f16_e32 v10, v10
	v_lshrrev_b32_e32 v21, 8, v7
	v_bfe_u32 v23, v7, 20, 11
	v_fma_f16 v14, v91, v18, -v14
	v_cndmask_b32_e32 v1, v1, v19, vcc_lo
	v_lshlrev_b32_e32 v19, v9, v22
	v_cmp_ne_u32_e32 vcc_lo, 0, v6
	v_cvt_f64_f32_e32 v[9:10], v10
	v_and_or_b32 v13, 0x8000, v15, v13
	v_and_or_b32 v1, 0x8000, v16, v1
	v_cvt_f32_f16_e32 v14, v14
	v_cndmask_b32_e64 v6, 0, 1, vcc_lo
	v_cmp_ne_u32_e32 vcc_lo, v19, v20
	v_sub_nc_u32_e32 v20, 0x3f1, v23
	v_and_b32_e32 v18, 0xffff, v13
	v_cvt_f64_f32_e32 v[13:14], v14
	v_and_or_b32 v6, 0xffe, v21, v6
	v_cndmask_b32_e64 v19, 0, 1, vcc_lo
	v_lshl_or_b32 v21, v17, 12, v4
	v_cmp_gt_i32_e32 vcc_lo, 1, v17
	v_med3_i32 v20, v20, 0, 13
	v_lshrrev_b32_e32 v7, 16, v7
	v_or_b32_e32 v19, v22, v19
	v_or_b32_e32 v22, 0x1000, v6
	v_lshl_or_b32 v18, v1, 16, v18
	v_cndmask_b32_e32 v19, v21, v19, vcc_lo
	v_lshrrev_b32_e32 v15, v20, v22
	v_mul_f64 v[9:10], v[9:10], s[6:7]
	v_lshrrev_b32_e32 v21, 16, v5
	v_and_b32_e32 v16, 7, v19
	v_lshlrev_b32_e32 v20, v20, v15
	v_cmp_lt_i32_e32 vcc_lo, 5, v16
	v_cmp_eq_u32_e64 s0, 3, v16
	v_lshrrev_b32_e32 v16, 2, v19
	v_cmp_ne_u32_e64 s1, v20, v22
	v_add_nc_u32_e32 v20, 0xfffffc10, v23
	v_mul_f16_sdwa v22, v90, v21 dst_sel:DWORD dst_unused:UNUSED_PAD src0_sel:WORD_1 src1_sel:DWORD
	s_or_b32 vcc_lo, s0, vcc_lo
	v_add_co_ci_u32_e32 v16, vcc_lo, 0, v16, vcc_lo
	v_cmp_ne_u32_e32 vcc_lo, 0, v4
	v_cndmask_b32_e64 v19, 0, 1, s1
	v_fmac_f16_e32 v22, v90, v5
	v_cndmask_b32_e64 v4, 0, 1, vcc_lo
	v_cmp_gt_i32_e32 vcc_lo, 31, v17
	v_or_b32_e32 v15, v15, v19
	v_lshl_or_b32 v19, v20, 12, v6
	v_lshl_or_b32 v4, v4, 9, 0x7c00
	v_cndmask_b32_e32 v16, 0x7c00, v16, vcc_lo
	v_cmp_gt_i32_e32 vcc_lo, 1, v20
	v_cndmask_b32_e32 v15, v19, v15, vcc_lo
	v_cmp_eq_u32_e32 vcc_lo, 0x40f, v17
	v_and_or_b32 v19, 0x1ff, v10, v9
	v_and_b32_e32 v17, 7, v15
	v_cndmask_b32_e32 v4, v16, v4, vcc_lo
	v_lshrrev_b32_e32 v16, 16, v8
	v_mul_f64 v[8:9], v[13:14], s[6:7]
	v_cmp_ne_u32_e32 vcc_lo, 0, v19
	v_lshrrev_b32_e32 v14, 8, v10
	v_bfe_u32 v19, v10, 20, 11
	v_cmp_eq_u32_e64 s0, 3, v17
	v_lshrrev_b32_e32 v15, 2, v15
	v_cndmask_b32_e64 v13, 0, 1, vcc_lo
	v_cmp_lt_i32_e32 vcc_lo, 5, v17
	v_and_or_b32 v4, 0x8000, v16, v4
	v_lshrrev_b32_e32 v10, 16, v10
	v_and_or_b32 v17, 0xffe, v14, v13
	v_sub_nc_u32_e32 v13, 0x3f1, v19
	s_or_b32 vcc_lo, s0, vcc_lo
	v_add_nc_u32_e32 v19, 0xfffffc10, v19
	v_add_co_ci_u32_e32 v14, vcc_lo, 0, v15, vcc_lo
	v_or_b32_e32 v15, 0x1000, v17
	v_med3_i32 v13, v13, 0, 13
	v_cmp_gt_i32_e32 vcc_lo, 31, v20
	v_and_or_b32 v8, 0x1ff, v9, v8
	v_lshrrev_b32_e32 v23, v13, v15
	v_cndmask_b32_e32 v16, 0x7c00, v14, vcc_lo
	v_cmp_ne_u32_e32 vcc_lo, 0, v6
	v_bfe_u32 v25, v9, 20, 11
	v_lshlrev_b32_e32 v24, v13, v23
	v_cvt_f32_f16_e32 v13, v22
	v_cndmask_b32_e64 v6, 0, 1, vcc_lo
	v_cmp_ne_u32_e32 vcc_lo, 0, v8
	v_lshrrev_b32_e32 v22, 8, v9
	v_lshrrev_b32_e32 v9, 16, v9
	v_cvt_f64_f32_e32 v[13:14], v13
	v_lshl_or_b32 v6, v6, 9, 0x7c00
	v_cndmask_b32_e64 v8, 0, 1, vcc_lo
	v_cmp_ne_u32_e32 vcc_lo, v24, v15
	v_and_or_b32 v8, 0xffe, v22, v8
	v_sub_nc_u32_e32 v22, 0x3f1, v25
	v_cndmask_b32_e64 v15, 0, 1, vcc_lo
	v_cmp_eq_u32_e32 vcc_lo, 0x40f, v20
	v_and_b32_e32 v20, 0xffff, v4
	v_or_b32_e32 v24, 0x1000, v8
	v_med3_i32 v22, v22, 0, 13
	v_or_b32_e32 v15, v23, v15
	v_lshl_or_b32 v23, v19, 12, v17
	v_cndmask_b32_e32 v6, v16, v6, vcc_lo
	v_cmp_gt_i32_e32 vcc_lo, 1, v19
	v_lshrrev_b32_e32 v16, v22, v24
	v_and_or_b32 v1, 0x8000, v7, v6
	v_cndmask_b32_e32 v15, v23, v15, vcc_lo
	v_lshlrev_b32_e32 v22, v22, v16
	v_mul_f64 v[6:7], v[13:14], s[6:7]
	v_mul_f16_sdwa v13, v90, v5 dst_sel:DWORD dst_unused:UNUSED_PAD src0_sel:WORD_1 src1_sel:DWORD
	v_add_co_u32 v4, vcc_lo, v11, s3
	v_and_b32_e32 v23, 7, v15
	v_cmp_ne_u32_e64 s0, v22, v24
	v_lshl_or_b32 v20, v1, 16, v20
	v_fma_f16 v1, v90, v21, -v13
	v_add_co_ci_u32_e32 v5, vcc_lo, s2, v12, vcc_lo
	v_cmp_lt_i32_e32 vcc_lo, 5, v23
	v_cndmask_b32_e64 v11, 0, 1, s0
	v_cmp_eq_u32_e64 s0, 3, v23
	v_cvt_f32_f16_e32 v1, v1
	v_lshrrev_b32_e32 v13, 2, v15
	v_add_nc_u32_e32 v21, 0xfffffc10, v25
	v_or_b32_e32 v14, v16, v11
	s_or_b32 vcc_lo, s0, vcc_lo
	v_cvt_f64_f32_e32 v[11:12], v1
	v_add_co_ci_u32_e32 v1, vcc_lo, 0, v13, vcc_lo
	v_cmp_ne_u32_e32 vcc_lo, 0, v17
	v_lshl_or_b32 v15, v21, 12, v8
	v_and_or_b32 v6, 0x1ff, v7, v6
	v_lshrrev_b32_e32 v16, 8, v7
	v_bfe_u32 v17, v7, 20, 11
	v_cndmask_b32_e64 v13, 0, 1, vcc_lo
	v_cmp_gt_i32_e32 vcc_lo, 1, v21
	global_store_dword v[4:5], v18, off
	v_lshl_or_b32 v13, v13, 9, 0x7c00
	v_cndmask_b32_e32 v14, v15, v14, vcc_lo
	v_cmp_gt_i32_e32 vcc_lo, 31, v19
	v_and_b32_e32 v15, 7, v14
	v_cndmask_b32_e32 v1, 0x7c00, v1, vcc_lo
	v_cmp_ne_u32_e32 vcc_lo, 0, v6
	v_mul_f64 v[11:12], v[11:12], s[6:7]
	v_lshrrev_b32_e32 v14, 2, v14
	v_cmp_eq_u32_e64 s0, 3, v15
	v_cndmask_b32_e64 v6, 0, 1, vcc_lo
	v_cmp_eq_u32_e32 vcc_lo, 0x40f, v19
	v_and_or_b32 v6, 0xffe, v16, v6
	v_cndmask_b32_e32 v19, v1, v13, vcc_lo
	v_sub_nc_u32_e32 v13, 0x3f1, v17
	v_cmp_lt_i32_e32 vcc_lo, 5, v15
	ds_read2_b32 v[1:2], v2 offset0:120 offset1:172
	v_or_b32_e32 v15, 0x1000, v6
	v_and_or_b32 v19, 0x8000, v10, v19
	v_med3_i32 v16, v13, 0, 13
	s_or_b32 vcc_lo, s0, vcc_lo
	v_add_co_ci_u32_e32 v22, vcc_lo, 0, v14, vcc_lo
	v_lshrrev_b32_e32 v23, v16, v15
	v_add_co_u32 v13, vcc_lo, v4, s5
	v_add_co_ci_u32_e32 v14, vcc_lo, s4, v5, vcc_lo
	v_lshlrev_b32_e32 v16, v16, v23
	v_cmp_gt_i32_e32 vcc_lo, 31, v21
	v_and_or_b32 v11, 0x1ff, v12, v11
	v_bfe_u32 v25, v12, 20, 11
	v_and_b32_e32 v19, 0xffff, v19
	global_store_dword v[13:14], v20, off
	v_cndmask_b32_e32 v22, 0x7c00, v22, vcc_lo
	v_cmp_ne_u32_e32 vcc_lo, v16, v15
	s_waitcnt lgkmcnt(0)
	v_lshrrev_b32_e32 v24, 16, v1
	v_add_nc_u32_e32 v15, 0xfffffc10, v17
	v_sub_nc_u32_e32 v26, 0x3f1, v25
	v_cndmask_b32_e64 v10, 0, 1, vcc_lo
	v_cmp_ne_u32_e32 vcc_lo, 0, v8
	v_mul_f16_sdwa v16, v89, v24 dst_sel:DWORD dst_unused:UNUSED_PAD src0_sel:WORD_1 src1_sel:DWORD
	v_lshl_or_b32 v17, v15, 12, v6
	v_med3_i32 v26, v26, 0, 13
	v_or_b32_e32 v10, v23, v10
	v_cndmask_b32_e64 v8, 0, 1, vcc_lo
	v_cmp_ne_u32_e32 vcc_lo, 0, v11
	v_lshrrev_b32_e32 v23, 8, v12
	v_fmac_f16_e32 v16, v89, v1
	v_mul_f16_sdwa v1, v89, v1 dst_sel:DWORD dst_unused:UNUSED_PAD src0_sel:WORD_1 src1_sel:DWORD
	v_lshl_or_b32 v8, v8, 9, 0x7c00
	v_cndmask_b32_e64 v11, 0, 1, vcc_lo
	v_cmp_gt_i32_e32 vcc_lo, 1, v15
	v_cvt_f32_f16_e32 v16, v16
	v_fma_f16 v1, v89, v24, -v1
	v_add_nc_u32_e32 v24, 0xfffffc10, v25
	v_and_or_b32 v23, 0xffe, v23, v11
	v_cndmask_b32_e32 v17, v17, v10, vcc_lo
	v_cmp_eq_u32_e32 vcc_lo, 0x40f, v21
	v_cvt_f64_f32_e32 v[10:11], v16
	v_cvt_f32_f16_e32 v1, v1
	v_or_b32_e32 v27, 0x1000, v23
	v_and_b32_e32 v16, 7, v17
	v_cndmask_b32_e32 v8, v22, v8, vcc_lo
	v_lshrrev_b32_e32 v12, 16, v12
	v_lshrrev_b32_e32 v21, v26, v27
	v_cmp_lt_i32_e32 vcc_lo, 5, v16
	v_cmp_eq_u32_e64 s0, 3, v16
	v_and_or_b32 v16, 0x8000, v9, v8
	v_lshrrev_b32_e32 v8, 2, v17
	v_lshlrev_b32_e32 v9, v26, v21
	s_or_b32 vcc_lo, s0, vcc_lo
	v_lshl_or_b32 v16, v16, 16, v19
	v_add_co_ci_u32_e32 v17, vcc_lo, 0, v8, vcc_lo
	v_cmp_ne_u32_e32 vcc_lo, v9, v27
	v_mul_f64 v[8:9], v[10:11], s[6:7]
	v_cndmask_b32_e64 v22, 0, 1, vcc_lo
	v_cmp_ne_u32_e32 vcc_lo, 0, v6
	v_cvt_f64_f32_e32 v[10:11], v1
	v_or_b32_e32 v6, v21, v22
	v_cndmask_b32_e64 v1, 0, 1, vcc_lo
	v_cmp_gt_i32_e32 vcc_lo, 31, v15
	v_lshl_or_b32 v21, v24, 12, v23
	v_lshl_or_b32 v1, v1, 9, 0x7c00
	v_cndmask_b32_e32 v17, 0x7c00, v17, vcc_lo
	v_cmp_gt_i32_e32 vcc_lo, 1, v24
	v_cndmask_b32_e32 v21, v21, v6, vcc_lo
	v_cmp_eq_u32_e32 vcc_lo, 0x40f, v15
	v_lshrrev_b32_e32 v15, 16, v7
	ds_read2_b32 v[6:7], v3 offset0:8 offset1:60
	v_and_or_b32 v5, 0x1ff, v9, v8
	v_and_b32_e32 v3, 7, v21
	v_cndmask_b32_e32 v1, v17, v1, vcc_lo
	v_lshrrev_b32_e32 v8, 2, v21
	v_cmp_ne_u32_e64 s1, 0, v5
	v_cmp_lt_i32_e32 vcc_lo, 5, v3
	v_cmp_eq_u32_e64 s0, 3, v3
	v_mul_f64 v[3:4], v[10:11], s[6:7]
	v_and_or_b32 v1, 0x8000, v15, v1
	v_cndmask_b32_e64 v5, 0, 1, s1
	v_lshrrev_b32_e32 v10, 8, v9
	s_or_b32 vcc_lo, s0, vcc_lo
	v_bfe_u32 v15, v9, 20, 11
	v_add_co_ci_u32_e32 v8, vcc_lo, 0, v8, vcc_lo
	v_cmp_ne_u32_e32 vcc_lo, 0, v23
	v_and_or_b32 v17, 0xffe, v10, v5
	v_sub_nc_u32_e32 v5, 0x3f1, v15
	s_waitcnt lgkmcnt(0)
	v_lshrrev_b32_e32 v18, 16, v6
	v_and_b32_e32 v1, 0xffff, v1
	v_cndmask_b32_e64 v10, 0, 1, vcc_lo
	v_cmp_gt_i32_e32 vcc_lo, 31, v24
	v_or_b32_e32 v19, 0x1000, v17
	v_med3_i32 v5, v5, 0, 13
	v_mul_f16_sdwa v11, v88, v18 dst_sel:DWORD dst_unused:UNUSED_PAD src0_sel:WORD_1 src1_sel:DWORD
	v_lshl_or_b32 v10, v10, 9, 0x7c00
	v_cndmask_b32_e32 v8, 0x7c00, v8, vcc_lo
	v_cmp_eq_u32_e32 vcc_lo, 0x40f, v24
	v_lshrrev_b32_e32 v20, v5, v19
	v_and_or_b32 v3, 0x1ff, v4, v3
	v_fmac_f16_e32 v11, v88, v6
	v_lshrrev_b32_e32 v21, 8, v4
	v_cndmask_b32_e32 v8, v8, v10, vcc_lo
	v_lshlrev_b32_e32 v5, v5, v20
	v_cmp_ne_u32_e32 vcc_lo, 0, v3
	v_cvt_f32_f16_e32 v10, v11
	v_bfe_u32 v22, v4, 20, 11
	v_and_or_b32 v8, 0x8000, v12, v8
	v_cndmask_b32_e64 v3, 0, 1, vcc_lo
	v_cmp_ne_u32_e32 vcc_lo, v5, v19
	v_cvt_f64_f32_e32 v[10:11], v10
	v_add_nc_u32_e32 v19, 0xfffffc10, v15
	v_sub_nc_u32_e32 v15, 0x3f1, v22
	v_and_or_b32 v3, 0xffe, v21, v3
	v_cndmask_b32_e64 v5, 0, 1, vcc_lo
	v_lshl_or_b32 v1, v8, 16, v1
	v_cmp_gt_i32_e32 vcc_lo, 1, v19
	v_med3_i32 v15, v15, 0, 13
	v_or_b32_e32 v21, 0x1000, v3
	v_or_b32_e32 v5, v20, v5
	v_lshl_or_b32 v20, v19, 12, v17
	v_lshrrev_b32_e32 v23, v15, v21
	v_cndmask_b32_e32 v20, v20, v5, vcc_lo
	v_add_co_u32 v12, vcc_lo, v13, s3
	v_add_co_ci_u32_e32 v13, vcc_lo, s2, v14, vcc_lo
	v_lshlrev_b32_e32 v14, v15, v23
	v_and_b32_e32 v8, 7, v20
	v_mul_f64 v[10:11], v[10:11], s[6:7]
	v_mul_f16_sdwa v15, v88, v6 dst_sel:DWORD dst_unused:UNUSED_PAD src0_sel:WORD_1 src1_sel:DWORD
	v_add_co_u32 v5, vcc_lo, v12, s5
	v_cmp_ne_u32_e64 s0, v14, v21
	v_add_co_ci_u32_e32 v6, vcc_lo, s4, v13, vcc_lo
	v_cmp_lt_i32_e32 vcc_lo, 5, v8
	v_fma_f16 v15, v88, v18, -v15
	v_cndmask_b32_e64 v14, 0, 1, s0
	v_cmp_eq_u32_e64 s0, 3, v8
	v_lshrrev_b32_e32 v8, 2, v20
	v_add_nc_u32_e32 v18, 0xfffffc10, v22
	v_cvt_f32_f16_e32 v15, v15
	v_or_b32_e32 v20, v23, v14
	s_or_b32 vcc_lo, s0, vcc_lo
	global_store_dword v[12:13], v16, off
	global_store_dword v[5:6], v1, off
	v_add_co_ci_u32_e32 v8, vcc_lo, 0, v8, vcc_lo
	v_cmp_ne_u32_e32 vcc_lo, 0, v17
	v_cvt_f64_f32_e32 v[14:15], v15
	v_lshl_or_b32 v21, v18, 12, v3
	v_and_or_b32 v10, 0x1ff, v11, v10
	v_lshrrev_b32_e32 v22, 8, v11
	v_cndmask_b32_e64 v17, 0, 1, vcc_lo
	v_cmp_gt_i32_e32 vcc_lo, 1, v18
	v_bfe_u32 v23, v11, 20, 11
	v_lshrrev_b32_e32 v11, 16, v11
	v_lshl_or_b32 v17, v17, 9, 0x7c00
	v_cndmask_b32_e32 v20, v21, v20, vcc_lo
	v_cmp_gt_i32_e32 vcc_lo, 31, v19
	v_and_b32_e32 v21, 7, v20
	v_cndmask_b32_e32 v8, 0x7c00, v8, vcc_lo
	v_cmp_ne_u32_e32 vcc_lo, 0, v10
	v_cmp_eq_u32_e64 s0, 3, v21
	v_cndmask_b32_e64 v10, 0, 1, vcc_lo
	v_cmp_eq_u32_e32 vcc_lo, 0x40f, v19
	v_lshrrev_b32_e32 v19, 16, v9
	v_and_or_b32 v10, 0xffe, v22, v10
	v_cndmask_b32_e32 v17, v8, v17, vcc_lo
	v_cmp_lt_i32_e32 vcc_lo, 5, v21
	v_mul_f64 v[8:9], v[14:15], s[6:7]
	v_lshrrev_b32_e32 v15, 2, v20
	v_sub_nc_u32_e32 v22, 0x3f1, v23
	v_or_b32_e32 v20, 0x1000, v10
	s_or_b32 vcc_lo, s0, vcc_lo
	v_lshrrev_b32_e32 v14, 16, v2
	v_add_co_ci_u32_e32 v15, vcc_lo, 0, v15, vcc_lo
	v_med3_i32 v21, v22, 0, 13
	v_cmp_ne_u32_e32 vcc_lo, 0, v3
	v_mul_f16_sdwa v22, v87, v14 dst_sel:DWORD dst_unused:UNUSED_PAD src0_sel:WORD_1 src1_sel:DWORD
	v_and_or_b32 v17, 0x8000, v19, v17
	v_lshrrev_b32_e32 v24, v21, v20
	v_cndmask_b32_e64 v3, 0, 1, vcc_lo
	v_cmp_gt_i32_e32 vcc_lo, 31, v18
	v_fmac_f16_e32 v22, v87, v2
	v_and_b32_e32 v17, 0xffff, v17
	v_lshlrev_b32_e32 v19, v21, v24
	v_lshl_or_b32 v3, v3, 9, 0x7c00
	v_cndmask_b32_e32 v15, 0x7c00, v15, vcc_lo
	v_cmp_eq_u32_e32 vcc_lo, 0x40f, v18
	v_and_or_b32 v8, 0x1ff, v9, v8
	v_cvt_f32_f16_e32 v21, v22
	v_lshrrev_b32_e32 v18, 16, v4
	v_bfe_u32 v22, v9, 20, 11
	v_cndmask_b32_e32 v15, v15, v3, vcc_lo
	v_cmp_ne_u32_e32 vcc_lo, v19, v20
	v_cvt_f64_f32_e32 v[3:4], v21
	v_add_nc_u32_e32 v20, 0xfffffc10, v23
	v_lshrrev_b32_e32 v21, 8, v9
	v_and_or_b32 v15, 0x8000, v18, v15
	v_cndmask_b32_e64 v19, 0, 1, vcc_lo
	v_cmp_ne_u32_e32 vcc_lo, 0, v8
	v_mul_f16_sdwa v2, v87, v2 dst_sel:DWORD dst_unused:UNUSED_PAD src0_sel:WORD_1 src1_sel:DWORD
	v_lshrrev_b32_e32 v9, 16, v9
	v_lshl_or_b32 v12, v15, 16, v17
	v_or_b32_e32 v18, v24, v19
	v_cndmask_b32_e64 v8, 0, 1, vcc_lo
	v_lshl_or_b32 v19, v20, 12, v10
	v_cmp_gt_i32_e32 vcc_lo, 1, v20
	v_fma_f16 v2, v87, v14, -v2
	v_add_nc_u32_e32 v14, 0xfffffc10, v22
	v_and_or_b32 v8, 0xffe, v21, v8
	v_sub_nc_u32_e32 v21, 0x3f1, v22
	v_cndmask_b32_e32 v18, v19, v18, vcc_lo
	v_add_co_u32 v5, vcc_lo, v5, s3
	v_or_b32_e32 v19, 0x1000, v8
	v_med3_i32 v21, v21, 0, 13
	v_and_b32_e32 v1, 7, v18
	v_mul_f64 v[3:4], v[3:4], s[6:7]
	v_add_co_ci_u32_e32 v6, vcc_lo, s2, v6, vcc_lo
	v_lshrrev_b32_e32 v13, v21, v19
	v_cmp_lt_i32_e32 vcc_lo, 5, v1
	v_cmp_eq_u32_e64 s0, 3, v1
	v_lshrrev_b32_e32 v1, 2, v18
	global_store_dword v[5:6], v12, off
	v_lshlrev_b32_e32 v15, v21, v13
	s_or_b32 vcc_lo, s0, vcc_lo
	v_add_co_ci_u32_e32 v16, vcc_lo, 0, v1, vcc_lo
	v_cmp_ne_u32_e64 s1, v15, v19
	v_cvt_f32_f16_e32 v1, v2
	v_cmp_ne_u32_e32 vcc_lo, 0, v10
	v_cndmask_b32_e64 v15, 0, 1, s1
	v_cvt_f64_f32_e32 v[1:2], v1
	v_cndmask_b32_e64 v10, 0, 1, vcc_lo
	v_cmp_gt_i32_e32 vcc_lo, 1, v14
	v_and_or_b32 v3, 0x1ff, v4, v3
	v_or_b32_e32 v13, v13, v15
	v_lshl_or_b32 v15, v14, 12, v8
	v_lshl_or_b32 v10, v10, 9, 0x7c00
	v_lshrrev_b32_e32 v17, 8, v4
	v_bfe_u32 v18, v4, 20, 11
	v_cndmask_b32_e32 v13, v15, v13, vcc_lo
	v_cmp_gt_i32_e32 vcc_lo, 31, v20
	v_cndmask_b32_e32 v15, 0x7c00, v16, vcc_lo
	v_cmp_ne_u32_e32 vcc_lo, 0, v3
	v_and_b32_e32 v16, 7, v13
	v_lshrrev_b32_e32 v13, 2, v13
	v_cndmask_b32_e64 v3, 0, 1, vcc_lo
	v_cmp_eq_u32_e32 vcc_lo, 0x40f, v20
	v_cmp_eq_u32_e64 s0, 3, v16
	v_mul_f64 v[1:2], v[1:2], s[6:7]
	v_and_or_b32 v3, 0xffe, v17, v3
	v_cndmask_b32_e32 v10, v15, v10, vcc_lo
	v_cmp_lt_i32_e32 vcc_lo, 5, v16
	v_sub_nc_u32_e32 v15, 0x3f1, v18
	v_lshrrev_b32_e32 v17, 16, v7
	v_or_b32_e32 v16, 0x1000, v3
	v_and_or_b32 v10, 0x8000, v11, v10
	s_or_b32 vcc_lo, s0, vcc_lo
	v_med3_i32 v15, v15, 0, 13
	v_add_co_ci_u32_e32 v13, vcc_lo, 0, v13, vcc_lo
	v_cmp_ne_u32_e32 vcc_lo, 0, v8
	v_mul_f16_sdwa v20, v86, v17 dst_sel:DWORD dst_unused:UNUSED_PAD src0_sel:WORD_1 src1_sel:DWORD
	v_lshrrev_b32_e32 v19, v15, v16
	v_and_b32_e32 v10, 0xffff, v10
	v_cndmask_b32_e64 v8, 0, 1, vcc_lo
	v_cmp_gt_i32_e32 vcc_lo, 31, v14
	v_lshlrev_b32_e32 v11, v15, v19
	v_fmac_f16_e32 v20, v86, v7
	v_and_or_b32 v1, 0x1ff, v2, v1
	v_lshl_or_b32 v8, v8, 9, 0x7c00
	v_cndmask_b32_e32 v13, 0x7c00, v13, vcc_lo
	v_cmp_eq_u32_e32 vcc_lo, 0x40f, v14
	v_add_nc_u32_e32 v14, 0xfffffc10, v18
	v_bfe_u32 v18, v2, 20, 11
	v_mul_f16_sdwa v7, v86, v7 dst_sel:DWORD dst_unused:UNUSED_PAD src0_sel:WORD_1 src1_sel:DWORD
	v_cndmask_b32_e32 v8, v13, v8, vcc_lo
	v_cmp_ne_u32_e32 vcc_lo, v11, v16
	v_cvt_f32_f16_e32 v13, v20
	v_lshrrev_b32_e32 v16, 8, v2
	v_fma_f16 v7, v86, v17, -v7
	v_and_or_b32 v15, 0x8000, v9, v8
	v_cndmask_b32_e64 v11, 0, 1, vcc_lo
	v_cmp_ne_u32_e32 vcc_lo, 0, v1
	v_cvt_f64_f32_e32 v[8:9], v13
	v_lshl_or_b32 v13, v14, 12, v3
	v_lshl_or_b32 v10, v15, 16, v10
	v_or_b32_e32 v11, v19, v11
	v_cndmask_b32_e64 v1, 0, 1, vcc_lo
	v_cmp_gt_i32_e32 vcc_lo, 1, v14
	v_cvt_f32_f16_e32 v7, v7
	v_lshrrev_b32_e32 v2, 16, v2
	v_and_or_b32 v1, 0xffe, v16, v1
	v_cndmask_b32_e32 v11, v13, v11, vcc_lo
	v_sub_nc_u32_e32 v13, 0x3f1, v18
	v_add_co_u32 v5, vcc_lo, v5, s5
	v_or_b32_e32 v15, 0x1000, v1
	v_and_b32_e32 v12, 7, v11
	v_med3_i32 v13, v13, 0, 13
	v_add_co_ci_u32_e32 v6, vcc_lo, s4, v6, vcc_lo
	v_add_nc_u32_e32 v18, 0xfffffc10, v18
	v_cmp_lt_i32_e32 vcc_lo, 5, v12
	v_lshrrev_b32_e32 v16, v13, v15
	v_cmp_eq_u32_e64 s0, 3, v12
	v_mul_f64 v[8:9], v[8:9], s[6:7]
	global_store_dword v[5:6], v10, off
	v_lshrrev_b32_e32 v10, 2, v11
	v_lshlrev_b32_e32 v11, v13, v16
	s_or_b32 vcc_lo, s0, vcc_lo
	v_cvt_f64_f32_e32 v[12:13], v7
	v_add_co_u32 v5, s1, v5, s3
	v_add_co_ci_u32_e32 v17, vcc_lo, 0, v10, vcc_lo
	v_cmp_ne_u32_e32 vcc_lo, v11, v15
	v_add_nc_u32_e32 v10, 0x1200, v82
	v_add_co_ci_u32_e64 v6, s1, s2, v6, s1
	v_cndmask_b32_e64 v15, 0, 1, vcc_lo
	v_cmp_ne_u32_e32 vcc_lo, 0, v3
	ds_read2_b32 v[10:11], v10 offset0:96 offset1:148
	v_or_b32_e32 v7, v16, v15
	v_cndmask_b32_e64 v3, 0, 1, vcc_lo
	v_cmp_gt_i32_e32 vcc_lo, 31, v14
	v_lshl_or_b32 v15, v18, 12, v1
	v_and_or_b32 v8, 0x1ff, v9, v8
	v_lshl_or_b32 v3, v3, 9, 0x7c00
	v_cndmask_b32_e32 v16, 0x7c00, v17, vcc_lo
	v_cmp_gt_i32_e32 vcc_lo, 1, v18
	v_bfe_u32 v17, v9, 20, 11
	v_cndmask_b32_e32 v7, v15, v7, vcc_lo
	v_cmp_ne_u32_e32 vcc_lo, 0, v8
	v_lshrrev_b32_e32 v15, 8, v9
	v_sub_nc_u32_e32 v19, 0x3f1, v17
	s_waitcnt lgkmcnt(0)
	v_lshrrev_b32_e32 v20, 16, v10
	v_add_nc_u32_e32 v17, 0xfffffc10, v17
	v_cndmask_b32_e64 v8, 0, 1, vcc_lo
	v_cmp_eq_u32_e32 vcc_lo, 0x40f, v14
	v_lshrrev_b32_e32 v9, 16, v9
	v_and_or_b32 v15, 0xffe, v15, v8
	v_cndmask_b32_e32 v14, v16, v3, vcc_lo
	v_and_b32_e32 v16, 7, v7
	v_lshrrev_b32_e32 v8, 16, v4
	v_mul_f64 v[3:4], v[12:13], s[6:7]
	v_lshrrev_b32_e32 v7, 2, v7
	v_or_b32_e32 v21, 0x1000, v15
	v_cmp_lt_i32_e32 vcc_lo, 5, v16
	v_cmp_eq_u32_e64 s0, 3, v16
	v_med3_i32 v12, v19, 0, 13
	v_mul_f16_sdwa v13, v85, v20 dst_sel:DWORD dst_unused:UNUSED_PAD src0_sel:WORD_1 src1_sel:DWORD
	v_and_or_b32 v14, 0x8000, v8, v14
	s_or_b32 vcc_lo, s0, vcc_lo
	v_lshrrev_b32_e32 v16, v12, v21
	v_add_co_ci_u32_e32 v7, vcc_lo, 0, v7, vcc_lo
	v_cmp_ne_u32_e32 vcc_lo, 0, v1
	v_fmac_f16_e32 v13, v85, v10
	v_lshlrev_b32_e32 v12, v12, v16
	v_and_b32_e32 v14, 0xffff, v14
	v_cndmask_b32_e64 v1, 0, 1, vcc_lo
	v_cmp_gt_i32_e32 vcc_lo, 31, v18
	v_cvt_f32_f16_e32 v8, v13
	v_and_or_b32 v3, 0x1ff, v4, v3
	v_lshl_or_b32 v1, v1, 9, 0x7c00
	v_cndmask_b32_e32 v13, 0x7c00, v7, vcc_lo
	v_cmp_ne_u32_e32 vcc_lo, v12, v21
	v_cvt_f64_f32_e32 v[7:8], v8
	v_cndmask_b32_e64 v12, 0, 1, vcc_lo
	v_cmp_eq_u32_e32 vcc_lo, 0x40f, v18
	v_bfe_u32 v18, v4, 20, 11
	v_or_b32_e32 v12, v16, v12
	v_cndmask_b32_e32 v1, v13, v1, vcc_lo
	v_cmp_ne_u32_e32 vcc_lo, 0, v3
	v_lshrrev_b32_e32 v16, 8, v4
	v_lshl_or_b32 v13, v17, 12, v15
	v_cndmask_b32_e64 v3, 0, 1, vcc_lo
	v_cmp_gt_i32_e32 vcc_lo, 1, v17
	v_and_or_b32 v3, 0xffe, v16, v3
	v_sub_nc_u32_e32 v16, 0x3f1, v18
	v_cndmask_b32_e32 v12, v13, v12, vcc_lo
	v_and_or_b32 v13, 0x8000, v2, v1
	v_mul_f64 v[1:2], v[7:8], s[6:7]
	v_or_b32_e32 v21, 0x1000, v3
	v_med3_i32 v7, v16, 0, 13
	v_and_b32_e32 v19, 7, v12
	v_mul_f16_sdwa v8, v85, v10 dst_sel:DWORD dst_unused:UNUSED_PAD src0_sel:WORD_1 src1_sel:DWORD
	v_lshrrev_b32_e32 v12, 2, v12
	v_lshl_or_b32 v13, v13, 16, v14
	v_lshrrev_b32_e32 v10, v7, v21
	v_cmp_lt_i32_e32 vcc_lo, 5, v19
	v_cmp_eq_u32_e64 s0, 3, v19
	v_fma_f16 v8, v85, v20, -v8
	v_add_nc_u32_e32 v16, 0xfffffc10, v18
	v_lshlrev_b32_e32 v7, v7, v10
	s_or_b32 vcc_lo, s0, vcc_lo
	v_cvt_f32_f16_e32 v8, v8
	v_add_co_ci_u32_e32 v12, vcc_lo, 0, v12, vcc_lo
	v_cmp_ne_u32_e32 vcc_lo, v7, v21
	v_cvt_f64_f32_e32 v[7:8], v8
	v_and_or_b32 v1, 0x1ff, v2, v1
	v_cndmask_b32_e64 v14, 0, 1, vcc_lo
	v_cmp_gt_i32_e32 vcc_lo, 31, v17
	v_lshrrev_b32_e32 v18, 8, v2
	v_bfe_u32 v19, v2, 20, 11
	v_or_b32_e32 v10, v10, v14
	v_cndmask_b32_e32 v12, 0x7c00, v12, vcc_lo
	v_cmp_ne_u32_e32 vcc_lo, 0, v1
	v_lshl_or_b32 v14, v16, 12, v3
	v_cndmask_b32_e64 v1, 0, 1, vcc_lo
	v_cmp_ne_u32_e32 vcc_lo, 0, v15
	v_and_or_b32 v1, 0xffe, v18, v1
	v_cndmask_b32_e64 v15, 0, 1, vcc_lo
	v_cmp_gt_i32_e32 vcc_lo, 1, v16
	v_lshrrev_b32_e32 v18, 16, v0
	v_mul_f64 v[7:8], v[7:8], s[6:7]
	v_or_b32_e32 v21, 0x1000, v1
	v_lshl_or_b32 v15, v15, 9, 0x7c00
	v_cndmask_b32_e32 v10, v14, v10, vcc_lo
	v_sub_nc_u32_e32 v14, 0x3f1, v19
	v_cmp_eq_u32_e32 vcc_lo, 0x40f, v17
	v_mul_f16_sdwa v22, v84, v18 dst_sel:DWORD dst_unused:UNUSED_PAD src0_sel:WORD_1 src1_sel:DWORD
	v_add_nc_u32_e32 v19, 0xfffffc10, v19
	v_and_b32_e32 v20, 7, v10
	v_med3_i32 v14, v14, 0, 13
	v_cndmask_b32_e32 v12, v12, v15, vcc_lo
	v_fmac_f16_e32 v22, v84, v0
	v_mul_f16_sdwa v0, v84, v0 dst_sel:DWORD dst_unused:UNUSED_PAD src0_sel:WORD_1 src1_sel:DWORD
	v_cmp_lt_i32_e32 vcc_lo, 5, v20
	v_lshrrev_b32_e32 v15, v14, v21
	v_cmp_eq_u32_e64 s0, 3, v20
	v_and_or_b32 v12, 0x8000, v9, v12
	v_lshrrev_b32_e32 v9, 2, v10
	v_fma_f16 v0, v84, v18, -v0
	v_lshlrev_b32_e32 v10, v14, v15
	s_or_b32 vcc_lo, s0, vcc_lo
	v_cvt_f32_f16_e32 v14, v22
	v_add_co_ci_u32_e32 v17, vcc_lo, 0, v9, vcc_lo
	v_cmp_ne_u32_e32 vcc_lo, v10, v21
	v_and_or_b32 v7, 0x1ff, v8, v7
	v_cvt_f64_f32_e32 v[9:10], v14
	v_and_b32_e32 v12, 0xffff, v12
	v_cvt_f32_f16_e32 v0, v0
	v_cndmask_b32_e64 v20, 0, 1, vcc_lo
	v_cmp_ne_u32_e32 vcc_lo, 0, v3
	v_lshrrev_b32_e32 v18, 16, v2
	v_or_b32_e32 v14, v15, v20
	v_cndmask_b32_e64 v3, 0, 1, vcc_lo
	v_cmp_gt_i32_e32 vcc_lo, 31, v16
	v_lshl_or_b32 v15, v19, 12, v1
	v_bfe_u32 v20, v8, 20, 11
	v_lshl_or_b32 v3, v3, 9, 0x7c00
	v_cndmask_b32_e32 v17, 0x7c00, v17, vcc_lo
	v_cmp_gt_i32_e32 vcc_lo, 1, v19
	v_cndmask_b32_e32 v14, v15, v14, vcc_lo
	v_cmp_ne_u32_e32 vcc_lo, 0, v7
	v_lshrrev_b32_e32 v15, 8, v8
	v_and_b32_e32 v21, 7, v14
	v_cndmask_b32_e64 v7, 0, 1, vcc_lo
	v_cmp_eq_u32_e32 vcc_lo, 0x40f, v16
	v_lshrrev_b32_e32 v14, 2, v14
	v_cmp_eq_u32_e64 s0, 3, v21
	v_and_or_b32 v7, 0xffe, v15, v7
	v_sub_nc_u32_e32 v15, 0x3f1, v20
	v_cndmask_b32_e32 v16, v17, v3, vcc_lo
	v_cmp_lt_i32_e32 vcc_lo, 5, v21
	v_lshrrev_b32_e32 v17, 16, v4
	v_mul_f64 v[3:4], v[9:10], s[6:7]
	v_or_b32_e32 v9, 0x1000, v7
	v_med3_i32 v10, v15, 0, 13
	s_or_b32 vcc_lo, s0, vcc_lo
	v_and_or_b32 v15, 0x8000, v17, v16
	v_add_co_ci_u32_e32 v14, vcc_lo, 0, v14, vcc_lo
	v_lshrrev_b32_e32 v16, v10, v9
	v_cmp_ne_u32_e32 vcc_lo, 0, v1
	v_lshl_or_b32 v12, v15, 16, v12
	v_add_nc_u32_e32 v15, 0xfffffc10, v20
	v_lshlrev_b32_e32 v10, v10, v16
	v_cndmask_b32_e64 v1, 0, 1, vcc_lo
	v_cmp_gt_i32_e32 vcc_lo, 31, v19
	v_lshl_or_b32 v1, v1, 9, 0x7c00
	v_cndmask_b32_e32 v14, 0x7c00, v14, vcc_lo
	v_cmp_ne_u32_e32 vcc_lo, v10, v9
	v_and_or_b32 v3, 0x1ff, v4, v3
	v_bfe_u32 v17, v4, 20, 11
	v_cndmask_b32_e64 v9, 0, 1, vcc_lo
	v_cmp_eq_u32_e32 vcc_lo, 0x40f, v19
	v_or_b32_e32 v9, v16, v9
	v_cndmask_b32_e32 v10, v14, v1, vcc_lo
	v_cmp_ne_u32_e32 vcc_lo, 0, v3
	v_lshl_or_b32 v14, v15, 12, v7
	v_lshrrev_b32_e32 v16, 8, v4
	v_cvt_f64_f32_e32 v[0:1], v0
	v_and_or_b32 v18, 0x8000, v18, v10
	v_cndmask_b32_e64 v3, 0, 1, vcc_lo
	v_cmp_gt_i32_e32 vcc_lo, 1, v15
	v_lshrrev_b32_e32 v4, 16, v4
	v_cndmask_b32_e32 v9, v14, v9, vcc_lo
	v_and_or_b32 v14, 0xffe, v16, v3
	v_sub_nc_u32_e32 v3, 0x3f1, v17
	v_lshrrev_b32_e32 v16, 16, v11
	v_add_co_u32 v2, vcc_lo, v5, s5
	v_or_b32_e32 v20, 0x1000, v14
	v_med3_i32 v21, v3, 0, 13
	v_and_b32_e32 v19, 7, v9
	v_mul_f16_sdwa v22, v83, v16 dst_sel:DWORD dst_unused:UNUSED_PAD src0_sel:WORD_1 src1_sel:DWORD
	v_add_co_ci_u32_e32 v3, vcc_lo, s4, v6, vcc_lo
	v_lshrrev_b32_e32 v23, v21, v20
	v_cmp_lt_i32_e32 vcc_lo, 5, v19
	v_fmac_f16_e32 v22, v83, v11
	v_cmp_eq_u32_e64 s0, 3, v19
	v_lshrrev_b32_e32 v9, 2, v9
	v_lshlrev_b32_e32 v19, v21, v23
	v_mul_f64 v[0:1], v[0:1], s[6:7]
	v_cvt_f32_f16_e32 v10, v22
	s_or_b32 vcc_lo, s0, vcc_lo
	v_add_nc_u32_e32 v17, 0xfffffc10, v17
	v_add_co_ci_u32_e32 v21, vcc_lo, 0, v9, vcc_lo
	v_cmp_ne_u32_e32 vcc_lo, v19, v20
	v_cvt_f64_f32_e32 v[9:10], v10
	v_mul_f16_sdwa v11, v83, v11 dst_sel:DWORD dst_unused:UNUSED_PAD src0_sel:WORD_1 src1_sel:DWORD
	v_lshl_or_b32 v20, v17, 12, v14
	v_cndmask_b32_e64 v19, 0, 1, vcc_lo
	v_cmp_ne_u32_e32 vcc_lo, 0, v7
	v_fma_f16 v11, v83, v16, -v11
	v_or_b32_e32 v19, v23, v19
	v_cndmask_b32_e64 v7, 0, 1, vcc_lo
	v_cmp_gt_i32_e32 vcc_lo, 31, v15
	v_cvt_f32_f16_e32 v11, v11
	v_lshl_or_b32 v7, v7, 9, 0x7c00
	v_cndmask_b32_e32 v16, 0x7c00, v21, vcc_lo
	v_cmp_gt_i32_e32 vcc_lo, 1, v17
	v_and_or_b32 v0, 0x1ff, v1, v0
	v_bfe_u32 v21, v1, 20, 11
	v_cndmask_b32_e32 v19, v20, v19, vcc_lo
	v_cmp_eq_u32_e32 vcc_lo, 0x40f, v15
	v_mul_f64 v[9:10], v[9:10], s[6:7]
	v_lshrrev_b32_e32 v20, 8, v1
	v_lshrrev_b32_e32 v1, 16, v1
	v_cndmask_b32_e32 v15, v16, v7, vcc_lo
	v_lshrrev_b32_e32 v16, 16, v8
	v_cvt_f64_f32_e32 v[7:8], v11
	v_cmp_ne_u32_e32 vcc_lo, 0, v0
	v_and_b32_e32 v11, 7, v19
	v_and_or_b32 v15, 0x8000, v16, v15
	v_and_b32_e32 v16, 0xffff, v18
	v_cndmask_b32_e64 v0, 0, 1, vcc_lo
	v_cmp_lt_i32_e32 vcc_lo, 5, v11
	v_cmp_eq_u32_e64 s0, 3, v11
	v_sub_nc_u32_e32 v18, 0x3f1, v21
	v_lshl_or_b32 v11, v15, 16, v16
	v_lshrrev_b32_e32 v15, 2, v19
	v_and_or_b32 v0, 0xffe, v20, v0
	s_or_b32 vcc_lo, s0, vcc_lo
	v_med3_i32 v18, v18, 0, 13
	v_add_co_ci_u32_e32 v15, vcc_lo, 0, v15, vcc_lo
	v_or_b32_e32 v16, 0x1000, v0
	v_cmp_ne_u32_e32 vcc_lo, 0, v14
	v_and_or_b32 v9, 0x1ff, v10, v9
	v_lshrrev_b32_e32 v20, 8, v10
	v_mul_f64 v[7:8], v[7:8], s[6:7]
	v_lshrrev_b32_e32 v19, v18, v16
	v_cndmask_b32_e64 v14, 0, 1, vcc_lo
	v_cmp_gt_i32_e32 vcc_lo, 31, v17
	v_bfe_u32 v22, v10, 20, 11
	v_lshrrev_b32_e32 v10, 16, v10
	v_lshlrev_b32_e32 v18, v18, v19
	v_lshl_or_b32 v14, v14, 9, 0x7c00
	v_cndmask_b32_e32 v15, 0x7c00, v15, vcc_lo
	v_cmp_ne_u32_e32 vcc_lo, 0, v9
	v_cndmask_b32_e64 v9, 0, 1, vcc_lo
	v_cmp_ne_u32_e32 vcc_lo, v18, v16
	v_add_nc_u32_e32 v18, 0xfffffc10, v21
	v_and_or_b32 v9, 0xffe, v20, v9
	v_cndmask_b32_e64 v16, 0, 1, vcc_lo
	v_sub_nc_u32_e32 v20, 0x3f1, v22
	v_cmp_eq_u32_e32 vcc_lo, 0x40f, v17
	v_and_or_b32 v7, 0x1ff, v8, v7
	v_or_b32_e32 v17, 0x1000, v9
	v_bfe_u32 v21, v8, 20, 11
	v_cndmask_b32_e32 v14, v15, v14, vcc_lo
	v_or_b32_e32 v15, v19, v16
	v_lshl_or_b32 v16, v18, 12, v0
	v_med3_i32 v19, v20, 0, 13
	v_cmp_gt_i32_e32 vcc_lo, 1, v18
	v_lshrrev_b32_e32 v20, 8, v8
	v_and_or_b32 v4, 0x8000, v4, v14
	v_sub_nc_u32_e32 v14, 0x3f1, v21
	v_lshrrev_b32_e32 v8, 16, v8
	v_cndmask_b32_e32 v15, v16, v15, vcc_lo
	v_lshrrev_b32_e32 v16, v19, v17
	v_cmp_ne_u32_e32 vcc_lo, 0, v7
	v_med3_i32 v14, v14, 0, 13
	v_and_b32_e32 v4, 0xffff, v4
	v_and_b32_e32 v23, 7, v15
	v_lshlrev_b32_e32 v19, v19, v16
	v_cndmask_b32_e64 v7, 0, 1, vcc_lo
	v_lshrrev_b32_e32 v15, 2, v15
	v_cmp_lt_i32_e32 vcc_lo, 5, v23
	v_cmp_ne_u32_e64 s0, v19, v17
	v_and_or_b32 v7, 0xffe, v20, v7
	v_add_nc_u32_e32 v20, 0xfffffc10, v22
	v_cndmask_b32_e64 v17, 0, 1, s0
	v_cmp_eq_u32_e64 s0, 3, v23
	v_or_b32_e32 v19, 0x1000, v7
	v_lshl_or_b32 v22, v20, 12, v9
	v_or_b32_e32 v16, v16, v17
	s_or_b32 vcc_lo, s0, vcc_lo
	v_lshrrev_b32_e32 v17, v14, v19
	v_add_co_ci_u32_e32 v15, vcc_lo, 0, v15, vcc_lo
	v_cmp_gt_i32_e32 vcc_lo, 1, v20
	v_lshlrev_b32_e32 v14, v14, v17
	v_cndmask_b32_e32 v16, v22, v16, vcc_lo
	v_cmp_ne_u32_e32 vcc_lo, 0, v0
	v_cndmask_b32_e64 v0, 0, 1, vcc_lo
	v_cmp_ne_u32_e32 vcc_lo, v14, v19
	v_add_nc_u32_e32 v19, 0xfffffc10, v21
	v_and_b32_e32 v21, 7, v16
	v_lshl_or_b32 v0, v0, 9, 0x7c00
	v_cndmask_b32_e64 v14, 0, 1, vcc_lo
	v_cmp_gt_i32_e32 vcc_lo, 31, v18
	v_cmp_gt_i32_e64 s1, 1, v19
	v_cmp_eq_u32_e64 s0, 3, v21
	v_or_b32_e32 v14, v17, v14
	v_lshl_or_b32 v17, v19, 12, v7
	v_cndmask_b32_e32 v15, 0x7c00, v15, vcc_lo
	v_cmp_lt_i32_e32 vcc_lo, 5, v21
	v_cndmask_b32_e64 v14, v17, v14, s1
	v_cmp_eq_u32_e64 s1, 0x40f, v18
	s_or_b32 vcc_lo, s0, vcc_lo
	v_cndmask_b32_e64 v0, v15, v0, s1
	v_lshrrev_b32_e32 v15, 2, v16
	v_and_b32_e32 v16, 7, v14
	v_lshrrev_b32_e32 v14, 2, v14
	v_cmp_gt_i32_e64 s1, 31, v20
	v_add_co_ci_u32_e32 v15, vcc_lo, 0, v15, vcc_lo
	v_cmp_ne_u32_e32 vcc_lo, 0, v9
	v_cmp_eq_u32_e64 s0, 3, v16
	v_cndmask_b32_e64 v15, 0x7c00, v15, s1
	v_cndmask_b32_e64 v9, 0, 1, vcc_lo
	v_cmp_lt_i32_e32 vcc_lo, 5, v16
	v_lshl_or_b32 v9, v9, 9, 0x7c00
	s_or_b32 vcc_lo, s0, vcc_lo
	v_add_co_ci_u32_e32 v14, vcc_lo, 0, v14, vcc_lo
	v_cmp_ne_u32_e32 vcc_lo, 0, v7
	v_cndmask_b32_e64 v7, 0, 1, vcc_lo
	v_cmp_eq_u32_e32 vcc_lo, 0x40f, v20
	v_lshl_or_b32 v7, v7, 9, 0x7c00
	v_cndmask_b32_e32 v9, v15, v9, vcc_lo
	v_cmp_gt_i32_e32 vcc_lo, 31, v19
	v_and_or_b32 v15, 0x8000, v1, v0
	v_and_or_b32 v9, 0x8000, v10, v9
	v_cndmask_b32_e32 v14, 0x7c00, v14, vcc_lo
	v_cmp_eq_u32_e32 vcc_lo, 0x40f, v19
	v_lshl_or_b32 v4, v15, 16, v4
	v_and_b32_e32 v9, 0xffff, v9
	v_cndmask_b32_e32 v7, v14, v7, vcc_lo
	v_add_co_u32 v0, vcc_lo, v2, s3
	v_add_co_ci_u32_e32 v1, vcc_lo, s2, v3, vcc_lo
	v_and_or_b32 v10, 0x8000, v8, v7
	v_add_co_u32 v7, vcc_lo, v0, s5
	v_add_co_ci_u32_e32 v8, vcc_lo, s4, v1, vcc_lo
	v_lshl_or_b32 v14, v10, 16, v9
	v_add_co_u32 v9, vcc_lo, v7, s3
	v_add_co_ci_u32_e32 v10, vcc_lo, s2, v8, vcc_lo
	global_store_dword v[5:6], v13, off
	global_store_dword v[2:3], v12, off
	;; [unrolled: 1-line block ×5, first 2 shown]
.LBB0_10:
	s_endpgm
	.section	.rodata,"a",@progbits
	.p2align	6, 0x0
	.amdhsa_kernel bluestein_single_back_len1352_dim1_half_op_CI_CI
		.amdhsa_group_segment_fixed_size 5408
		.amdhsa_private_segment_fixed_size 0
		.amdhsa_kernarg_size 104
		.amdhsa_user_sgpr_count 6
		.amdhsa_user_sgpr_private_segment_buffer 1
		.amdhsa_user_sgpr_dispatch_ptr 0
		.amdhsa_user_sgpr_queue_ptr 0
		.amdhsa_user_sgpr_kernarg_segment_ptr 1
		.amdhsa_user_sgpr_dispatch_id 0
		.amdhsa_user_sgpr_flat_scratch_init 0
		.amdhsa_user_sgpr_private_segment_size 0
		.amdhsa_wavefront_size32 1
		.amdhsa_uses_dynamic_stack 0
		.amdhsa_system_sgpr_private_segment_wavefront_offset 0
		.amdhsa_system_sgpr_workgroup_id_x 1
		.amdhsa_system_sgpr_workgroup_id_y 0
		.amdhsa_system_sgpr_workgroup_id_z 0
		.amdhsa_system_sgpr_workgroup_info 0
		.amdhsa_system_vgpr_workitem_id 0
		.amdhsa_next_free_vgpr 222
		.amdhsa_next_free_sgpr 20
		.amdhsa_reserve_vcc 1
		.amdhsa_reserve_flat_scratch 0
		.amdhsa_float_round_mode_32 0
		.amdhsa_float_round_mode_16_64 0
		.amdhsa_float_denorm_mode_32 3
		.amdhsa_float_denorm_mode_16_64 3
		.amdhsa_dx10_clamp 1
		.amdhsa_ieee_mode 1
		.amdhsa_fp16_overflow 0
		.amdhsa_workgroup_processor_mode 1
		.amdhsa_memory_ordered 1
		.amdhsa_forward_progress 0
		.amdhsa_shared_vgpr_count 0
		.amdhsa_exception_fp_ieee_invalid_op 0
		.amdhsa_exception_fp_denorm_src 0
		.amdhsa_exception_fp_ieee_div_zero 0
		.amdhsa_exception_fp_ieee_overflow 0
		.amdhsa_exception_fp_ieee_underflow 0
		.amdhsa_exception_fp_ieee_inexact 0
		.amdhsa_exception_int_div_zero 0
	.end_amdhsa_kernel
	.text
.Lfunc_end0:
	.size	bluestein_single_back_len1352_dim1_half_op_CI_CI, .Lfunc_end0-bluestein_single_back_len1352_dim1_half_op_CI_CI
                                        ; -- End function
	.section	.AMDGPU.csdata,"",@progbits
; Kernel info:
; codeLenInByte = 51384
; NumSgprs: 22
; NumVgprs: 222
; ScratchSize: 0
; MemoryBound: 0
; FloatMode: 240
; IeeeMode: 1
; LDSByteSize: 5408 bytes/workgroup (compile time only)
; SGPRBlocks: 2
; VGPRBlocks: 27
; NumSGPRsForWavesPerEU: 22
; NumVGPRsForWavesPerEU: 222
; Occupancy: 4
; WaveLimiterHint : 1
; COMPUTE_PGM_RSRC2:SCRATCH_EN: 0
; COMPUTE_PGM_RSRC2:USER_SGPR: 6
; COMPUTE_PGM_RSRC2:TRAP_HANDLER: 0
; COMPUTE_PGM_RSRC2:TGID_X_EN: 1
; COMPUTE_PGM_RSRC2:TGID_Y_EN: 0
; COMPUTE_PGM_RSRC2:TGID_Z_EN: 0
; COMPUTE_PGM_RSRC2:TIDIG_COMP_CNT: 0
	.text
	.p2alignl 6, 3214868480
	.fill 48, 4, 3214868480
	.type	__hip_cuid_de03ca101c834951,@object ; @__hip_cuid_de03ca101c834951
	.section	.bss,"aw",@nobits
	.globl	__hip_cuid_de03ca101c834951
__hip_cuid_de03ca101c834951:
	.byte	0                               ; 0x0
	.size	__hip_cuid_de03ca101c834951, 1

	.ident	"AMD clang version 19.0.0git (https://github.com/RadeonOpenCompute/llvm-project roc-6.4.0 25133 c7fe45cf4b819c5991fe208aaa96edf142730f1d)"
	.section	".note.GNU-stack","",@progbits
	.addrsig
	.addrsig_sym __hip_cuid_de03ca101c834951
	.amdgpu_metadata
---
amdhsa.kernels:
  - .args:
      - .actual_access:  read_only
        .address_space:  global
        .offset:         0
        .size:           8
        .value_kind:     global_buffer
      - .actual_access:  read_only
        .address_space:  global
        .offset:         8
        .size:           8
        .value_kind:     global_buffer
      - .actual_access:  read_only
        .address_space:  global
        .offset:         16
        .size:           8
        .value_kind:     global_buffer
      - .actual_access:  read_only
        .address_space:  global
        .offset:         24
        .size:           8
        .value_kind:     global_buffer
      - .actual_access:  read_only
        .address_space:  global
        .offset:         32
        .size:           8
        .value_kind:     global_buffer
      - .offset:         40
        .size:           8
        .value_kind:     by_value
      - .address_space:  global
        .offset:         48
        .size:           8
        .value_kind:     global_buffer
      - .address_space:  global
        .offset:         56
        .size:           8
        .value_kind:     global_buffer
      - .address_space:  global
        .offset:         64
        .size:           8
        .value_kind:     global_buffer
      - .address_space:  global
        .offset:         72
        .size:           8
        .value_kind:     global_buffer
      - .offset:         80
        .size:           4
        .value_kind:     by_value
      - .address_space:  global
        .offset:         88
        .size:           8
        .value_kind:     global_buffer
      - .address_space:  global
        .offset:         96
        .size:           8
        .value_kind:     global_buffer
    .group_segment_fixed_size: 5408
    .kernarg_segment_align: 8
    .kernarg_segment_size: 104
    .language:       OpenCL C
    .language_version:
      - 2
      - 0
    .max_flat_workgroup_size: 52
    .name:           bluestein_single_back_len1352_dim1_half_op_CI_CI
    .private_segment_fixed_size: 0
    .sgpr_count:     22
    .sgpr_spill_count: 0
    .symbol:         bluestein_single_back_len1352_dim1_half_op_CI_CI.kd
    .uniform_work_group_size: 1
    .uses_dynamic_stack: false
    .vgpr_count:     222
    .vgpr_spill_count: 0
    .wavefront_size: 32
    .workgroup_processor_mode: 1
amdhsa.target:   amdgcn-amd-amdhsa--gfx1030
amdhsa.version:
  - 1
  - 2
...

	.end_amdgpu_metadata
